;; amdgpu-corpus repo=ROCm/rocFFT kind=compiled arch=gfx1201 opt=O3
	.text
	.amdgcn_target "amdgcn-amd-amdhsa--gfx1201"
	.amdhsa_code_object_version 6
	.protected	bluestein_single_back_len1408_dim1_dp_op_CI_CI ; -- Begin function bluestein_single_back_len1408_dim1_dp_op_CI_CI
	.globl	bluestein_single_back_len1408_dim1_dp_op_CI_CI
	.p2align	8
	.type	bluestein_single_back_len1408_dim1_dp_op_CI_CI,@function
bluestein_single_back_len1408_dim1_dp_op_CI_CI: ; @bluestein_single_back_len1408_dim1_dp_op_CI_CI
; %bb.0:
	s_load_b128 s[16:19], s[0:1], 0x28
	v_mul_u32_u24_e32 v1, 0x175, v0
	s_mov_b32 s2, exec_lo
	v_mov_b32_e32 v5, 0
	s_delay_alu instid0(VALU_DEP_2) | instskip(NEXT) | instid1(VALU_DEP_1)
	v_lshrrev_b32_e32 v1, 16, v1
	v_add_nc_u32_e32 v4, ttmp9, v1
	s_wait_kmcnt 0x0
	s_delay_alu instid0(VALU_DEP_1)
	v_cmpx_gt_u64_e64 s[16:17], v[4:5]
	s_cbranch_execz .LBB0_10
; %bb.1:
	s_clause 0x1
	s_load_b128 s[4:7], s[0:1], 0x18
	s_load_b128 s[8:11], s[0:1], 0x0
	v_mul_lo_u16 v1, 0xb0, v1
	s_load_b64 s[0:1], s[0:1], 0x38
                                        ; implicit-def: $vgpr108_vgpr109
	s_delay_alu instid0(VALU_DEP_1) | instskip(NEXT) | instid1(VALU_DEP_1)
	v_sub_nc_u16 v0, v0, v1
	v_and_b32_e32 v255, 0xffff, v0
	v_mov_b32_e32 v5, v4
	scratch_store_b64 off, v[5:6], off      ; 8-byte Folded Spill
	s_wait_kmcnt 0x0
	s_load_b128 s[12:15], s[4:5], 0x0
	s_movk_i32 s4, 0xdf00
	s_mov_b32 s5, -1
	s_wait_kmcnt 0x0
	v_mad_co_u64_u32 v[8:9], null, s12, v255, 0
	v_mad_co_u64_u32 v[1:2], null, s14, v4, 0
	s_mul_u64 s[2:3], s[12:13], 0x2c00
	s_mul_u64 s[4:5], s[12:13], s[4:5]
	s_delay_alu instid0(VALU_DEP_2) | instskip(NEXT) | instid1(VALU_DEP_1)
	v_mov_b32_e32 v3, v9
	v_mad_co_u64_u32 v[4:5], null, s15, v4, v[2:3]
	s_delay_alu instid0(VALU_DEP_1) | instskip(SKIP_3) | instid1(VALU_DEP_4)
	v_mov_b32_e32 v2, v4
	v_lshlrev_b32_e32 v132, 4, v255
	v_mad_co_u64_u32 v[5:6], null, s13, v255, v[3:4]
	v_lshlrev_b32_e32 v7, 5, v255
	v_lshlrev_b64_e32 v[1:2], 4, v[1:2]
	s_delay_alu instid0(VALU_DEP_3) | instskip(NEXT) | instid1(VALU_DEP_2)
	v_mov_b32_e32 v9, v5
	v_add_co_u32 v1, vcc_lo, s18, v1
	s_delay_alu instid0(VALU_DEP_3) | instskip(NEXT) | instid1(VALU_DEP_3)
	v_add_co_ci_u32_e32 v2, vcc_lo, s19, v2, vcc_lo
	v_lshlrev_b64_e32 v[16:17], 4, v[8:9]
	s_clause 0x4
	global_load_b128 v[3:6], v132, s[8:9]
	global_load_b128 v[10:13], v132, s[8:9] offset:2816
	global_load_b128 v[18:21], v132, s[8:9] offset:11264
	global_load_b128 v[94:97], v132, s[8:9] offset:14080
	global_load_b128 v[98:101], v132, s[8:9] offset:16896
	v_add_co_u32 v1, vcc_lo, v1, v16
	s_wait_alu 0xfffd
	v_add_co_ci_u32_e32 v2, vcc_lo, v2, v17, vcc_lo
	global_load_b128 v[14:17], v132, s[8:9] offset:5632
	v_add_co_u32 v24, vcc_lo, v1, s2
	s_wait_alu 0xfffd
	v_add_co_ci_u32_e32 v25, vcc_lo, s3, v2, vcc_lo
	s_clause 0x1
	global_load_b128 v[32:35], v[1:2], off
	global_load_b128 v[36:39], v[24:25], off
	v_add_co_u32 v26, vcc_lo, v24, s4
	s_wait_alu 0xfffd
	v_add_co_ci_u32_e32 v27, vcc_lo, s5, v25, vcc_lo
	s_delay_alu instid0(VALU_DEP_2) | instskip(SKIP_1) | instid1(VALU_DEP_2)
	v_add_co_u32 v28, vcc_lo, v26, s2
	s_wait_alu 0xfffd
	v_add_co_ci_u32_e32 v29, vcc_lo, s3, v27, vcc_lo
	s_clause 0x1
	global_load_b128 v[40:43], v[26:27], off
	global_load_b128 v[44:47], v[28:29], off
	v_add_co_u32 v30, vcc_lo, v28, s4
	s_wait_alu 0xfffd
	v_add_co_ci_u32_e32 v31, vcc_lo, s5, v29, vcc_lo
	s_delay_alu instid0(VALU_DEP_2) | instskip(SKIP_1) | instid1(VALU_DEP_2)
	v_add_co_u32 v1, vcc_lo, v30, s2
	s_wait_alu 0xfffd
	v_add_co_ci_u32_e32 v2, vcc_lo, s3, v31, vcc_lo
	global_load_b128 v[48:51], v[30:31], off
	v_add_co_u32 v28, vcc_lo, v1, s4
	s_wait_alu 0xfffd
	v_add_co_ci_u32_e32 v29, vcc_lo, s5, v2, vcc_lo
	s_delay_alu instid0(VALU_DEP_2) | instskip(SKIP_1) | instid1(VALU_DEP_2)
	v_add_co_u32 v60, vcc_lo, v28, s2
	s_wait_alu 0xfffd
	v_add_co_ci_u32_e32 v61, vcc_lo, s3, v29, vcc_lo
	global_load_b128 v[52:55], v[1:2], off
	global_load_b128 v[22:25], v132, s[8:9] offset:8448
	global_load_b128 v[56:59], v[28:29], off
	global_load_b128 v[28:31], v132, s[8:9] offset:19712
	global_load_b128 v[60:63], v[60:61], off
	s_load_b128 s[4:7], s[6:7], 0x0
	v_cmp_gt_u16_e32 vcc_lo, 0x80, v0
	v_add_co_u32 v128, s2, s8, v132
	s_wait_alu 0xf1ff
	v_add_co_ci_u32_e64 v129, null, s9, 0, s2
	s_wait_loadcnt 0xf
	scratch_store_b128 off, v[3:6], off offset:8 ; 16-byte Folded Spill
	s_wait_loadcnt 0xe
	scratch_store_b128 off, v[10:13], off offset:24 ; 16-byte Folded Spill
	s_wait_loadcnt 0xd
	scratch_store_b128 off, v[18:21], off offset:40 ; 16-byte Folded Spill
	s_wait_loadcnt 0xc
	scratch_store_b128 off, v[94:97], off offset:56 ; 16-byte Folded Spill
	s_wait_loadcnt 0xb
	scratch_store_b128 off, v[98:101], off offset:88 ; 16-byte Folded Spill
	s_wait_loadcnt 0xa
	scratch_store_b128 off, v[14:17], off offset:72 ; 16-byte Folded Spill
	s_wait_loadcnt 0x9
	v_mul_f64_e32 v[1:2], v[34:35], v[5:6]
	v_mul_f64_e32 v[64:65], v[32:33], v[5:6]
	s_wait_loadcnt 0x8
	v_mul_f64_e32 v[66:67], v[38:39], v[20:21]
	v_mul_f64_e32 v[68:69], v[36:37], v[20:21]
	;; [unrolled: 3-line block ×8, first 2 shown]
	scratch_store_b128 off, v[22:25], off offset:104 ; 16-byte Folded Spill
	v_fma_f64 v[32:33], v[32:33], v[3:4], v[1:2]
	v_fma_f64 v[34:35], v[34:35], v[3:4], -v[64:65]
	v_fma_f64 v[36:37], v[36:37], v[18:19], v[66:67]
	v_fma_f64 v[38:39], v[38:39], v[18:19], -v[68:69]
	v_lshlrev_b32_e32 v1, 1, v255
	v_add_nc_u32_e32 v3, 0xb0, v255
	v_and_b32_e32 v4, 1, v255
	s_delay_alu instid0(VALU_DEP_3) | instskip(SKIP_1) | instid1(VALU_DEP_3)
	v_add_nc_u32_e32 v2, 0x2c0, v1
	v_lshlrev_b32_e32 v5, 4, v1
	v_lshlrev_b32_e32 v6, 4, v4
	v_fma_f64 v[40:41], v[40:41], v[10:11], v[70:71]
	v_fma_f64 v[42:43], v[42:43], v[10:11], -v[72:73]
	v_fma_f64 v[44:45], v[44:45], v[94:95], v[74:75]
	v_fma_f64 v[46:47], v[46:47], v[94:95], -v[76:77]
	v_lshlrev_b32_e32 v10, 5, v3
	v_lshlrev_b32_e32 v9, 4, v2
	v_fma_f64 v[48:49], v[48:49], v[14:15], v[78:79]
	v_fma_f64 v[50:51], v[50:51], v[14:15], -v[80:81]
	v_fma_f64 v[52:53], v[52:53], v[98:99], v[82:83]
	v_fma_f64 v[54:55], v[54:55], v[98:99], -v[84:85]
	;; [unrolled: 2-line block ×4, first 2 shown]
	ds_store_b128 v132, v[32:35]
	ds_store_b128 v132, v[40:43] offset:2816
	ds_store_b128 v132, v[36:39] offset:11264
	;; [unrolled: 1-line block ×7, first 2 shown]
	global_wb scope:SCOPE_SE
	s_wait_storecnt_dscnt 0x0
	s_wait_kmcnt 0x0
	s_barrier_signal -1
	s_barrier_wait -1
	global_inv scope:SCOPE_SE
	ds_load_b128 v[32:35], v132 offset:11264
	ds_load_b128 v[36:39], v132
	ds_load_b128 v[40:43], v132 offset:2816
	ds_load_b128 v[44:47], v132 offset:14080
	;; [unrolled: 1-line block ×6, first 2 shown]
	global_wb scope:SCOPE_SE
	s_wait_dscnt 0x0
	s_barrier_signal -1
	s_barrier_wait -1
	global_inv scope:SCOPE_SE
	v_add_f64_e64 v[32:33], v[36:37], -v[32:33]
	v_add_f64_e64 v[34:35], v[38:39], -v[34:35]
	v_add_f64_e64 v[44:45], v[40:41], -v[44:45]
	v_add_f64_e64 v[46:47], v[42:43], -v[46:47]
	v_add_f64_e64 v[64:65], v[52:53], -v[48:49]
	v_add_f64_e64 v[66:67], v[54:55], -v[50:51]
	v_add_f64_e64 v[60:61], v[56:57], -v[60:61]
	v_add_f64_e64 v[62:63], v[58:59], -v[62:63]
	v_add_nc_u32_e32 v48, 0x210, v255
	s_delay_alu instid0(VALU_DEP_1)
	v_lshlrev_b32_e32 v8, 5, v48
	v_fma_f64 v[36:37], v[36:37], 2.0, -v[32:33]
	v_fma_f64 v[38:39], v[38:39], 2.0, -v[34:35]
	;; [unrolled: 1-line block ×8, first 2 shown]
	ds_store_b128 v7, v[36:39]
	ds_store_b128 v7, v[32:35] offset:16
	ds_store_b128 v7, v[40:43] offset:5632
	scratch_store_b32 off, v10, off offset:128 ; 4-byte Folded Spill
	ds_store_b128 v10, v[44:47] offset:16
	ds_store_b128 v5, v[49:52] offset:11264
	scratch_store_b32 off, v9, off offset:124 ; 4-byte Folded Spill
	;; [unrolled: 3-line block ×3, first 2 shown]
	ds_store_b128 v8, v[60:63] offset:16
	global_wb scope:SCOPE_SE
	s_wait_storecnt_dscnt 0x0
	s_barrier_signal -1
	s_barrier_wait -1
	global_inv scope:SCOPE_SE
	global_load_b128 v[32:35], v6, s[10:11]
	ds_load_b128 v[36:39], v132 offset:11264
	ds_load_b128 v[40:43], v132 offset:14080
	;; [unrolled: 1-line block ×4, first 2 shown]
	v_and_b32_e32 v5, 3, v255
	v_and_or_b32 v6, 0x1fc, v1, v4
	v_and_or_b32 v8, 0x7fc, v2, v4
	s_delay_alu instid0(VALU_DEP_3) | instskip(NEXT) | instid1(VALU_DEP_3)
	v_lshlrev_b32_e32 v9, 4, v5
	v_lshlrev_b32_e32 v10, 4, v6
	s_delay_alu instid0(VALU_DEP_3)
	v_lshlrev_b32_e32 v6, 4, v8
	v_and_or_b32 v8, 0x7f8, v2, v5
	s_wait_loadcnt_dscnt 0x3
	v_mul_f64_e32 v[53:54], v[38:39], v[34:35]
	v_mul_f64_e32 v[55:56], v[36:37], v[34:35]
	s_wait_dscnt 0x2
	v_mul_f64_e32 v[57:58], v[42:43], v[34:35]
	v_mul_f64_e32 v[59:60], v[40:41], v[34:35]
	s_wait_dscnt 0x1
	v_mul_f64_e32 v[61:62], v[46:47], v[34:35]
	v_mul_f64_e32 v[63:64], v[44:45], v[34:35]
	s_wait_dscnt 0x0
	v_mul_f64_e32 v[65:66], v[51:52], v[34:35]
	v_mul_f64_e32 v[67:68], v[49:50], v[34:35]
	v_fma_f64 v[53:54], v[36:37], v[32:33], -v[53:54]
	v_fma_f64 v[55:56], v[38:39], v[32:33], v[55:56]
	v_fma_f64 v[57:58], v[40:41], v[32:33], -v[57:58]
	v_fma_f64 v[59:60], v[42:43], v[32:33], v[59:60]
	;; [unrolled: 2-line block ×4, first 2 shown]
	ds_load_b128 v[36:39], v132
	ds_load_b128 v[40:43], v132 offset:2816
	ds_load_b128 v[44:47], v132 offset:5632
	;; [unrolled: 1-line block ×3, first 2 shown]
	global_wb scope:SCOPE_SE
	s_wait_dscnt 0x0
	s_barrier_signal -1
	s_barrier_wait -1
	global_inv scope:SCOPE_SE
	scratch_store_b32 off, v10, off offset:144 ; 4-byte Folded Spill
	v_add_f64_e64 v[53:54], v[36:37], -v[53:54]
	v_add_f64_e64 v[55:56], v[38:39], -v[55:56]
	;; [unrolled: 1-line block ×8, first 2 shown]
	v_fma_f64 v[36:37], v[36:37], 2.0, -v[53:54]
	v_fma_f64 v[38:39], v[38:39], 2.0, -v[55:56]
	;; [unrolled: 1-line block ×8, first 2 shown]
	v_lshlrev_b32_e32 v50, 1, v3
	v_lshlrev_b32_e32 v49, 1, v48
	v_and_b32_e32 v3, 31, v3
	s_delay_alu instid0(VALU_DEP_3) | instskip(NEXT) | instid1(VALU_DEP_3)
	v_and_or_b32 v7, 0x3fc, v50, v4
	v_and_or_b32 v4, 0x7fc, v49, v4
	s_delay_alu instid0(VALU_DEP_2) | instskip(NEXT) | instid1(VALU_DEP_2)
	v_lshlrev_b32_e32 v7, 4, v7
	v_lshlrev_b32_e32 v4, 4, v4
	ds_store_b128 v10, v[36:39]
	ds_store_b128 v10, v[53:56] offset:32
	ds_store_b128 v7, v[40:43]
	scratch_store_b32 off, v7, off offset:140 ; 4-byte Folded Spill
	ds_store_b128 v7, v[57:60] offset:32
	ds_store_b128 v6, v[44:47]
	scratch_store_b32 off, v6, off offset:136 ; 4-byte Folded Spill
	;; [unrolled: 3-line block ×3, first 2 shown]
	ds_store_b128 v4, v[65:68] offset:32
	global_wb scope:SCOPE_SE
	s_wait_storecnt_dscnt 0x0
	s_barrier_signal -1
	s_barrier_wait -1
	global_inv scope:SCOPE_SE
	global_load_b128 v[36:39], v9, s[10:11] offset:32
	ds_load_b128 v[40:43], v132 offset:11264
	ds_load_b128 v[44:47], v132 offset:14080
	;; [unrolled: 1-line block ×4, first 2 shown]
	v_and_b32_e32 v4, 7, v255
	v_and_or_b32 v6, 0x1f8, v1, v5
	v_and_or_b32 v7, 0x3f8, v50, v5
	v_and_or_b32 v5, 0x7f8, v49, v5
	s_delay_alu instid0(VALU_DEP_4) | instskip(NEXT) | instid1(VALU_DEP_4)
	v_lshlrev_b32_e32 v9, 4, v4
	v_lshlrev_b32_e32 v10, 4, v6
	s_delay_alu instid0(VALU_DEP_4)
	v_lshlrev_b32_e32 v7, 4, v7
	v_lshlrev_b32_e32 v6, 4, v8
	v_lshlrev_b32_e32 v5, 4, v5
	v_and_or_b32 v8, 0x7f0, v2, v4
	s_wait_loadcnt_dscnt 0x3
	v_mul_f64_e32 v[59:60], v[42:43], v[38:39]
	v_mul_f64_e32 v[61:62], v[40:41], v[38:39]
	s_wait_dscnt 0x2
	v_mul_f64_e32 v[63:64], v[46:47], v[38:39]
	v_mul_f64_e32 v[65:66], v[44:45], v[38:39]
	s_wait_dscnt 0x1
	;; [unrolled: 3-line block ×3, first 2 shown]
	v_mul_f64_e32 v[71:72], v[57:58], v[38:39]
	v_mul_f64_e32 v[73:74], v[55:56], v[38:39]
	v_fma_f64 v[59:60], v[40:41], v[36:37], -v[59:60]
	v_fma_f64 v[61:62], v[42:43], v[36:37], v[61:62]
	v_fma_f64 v[63:64], v[44:45], v[36:37], -v[63:64]
	v_fma_f64 v[65:66], v[46:47], v[36:37], v[65:66]
	;; [unrolled: 2-line block ×4, first 2 shown]
	ds_load_b128 v[40:43], v132
	ds_load_b128 v[44:47], v132 offset:2816
	ds_load_b128 v[51:54], v132 offset:5632
	;; [unrolled: 1-line block ×3, first 2 shown]
	global_wb scope:SCOPE_SE
	s_wait_dscnt 0x0
	s_barrier_signal -1
	s_barrier_wait -1
	global_inv scope:SCOPE_SE
	scratch_store_b32 off, v10, off offset:160 ; 4-byte Folded Spill
	v_add_f64_e64 v[59:60], v[40:41], -v[59:60]
	v_add_f64_e64 v[61:62], v[42:43], -v[61:62]
	;; [unrolled: 1-line block ×8, first 2 shown]
	v_fma_f64 v[40:41], v[40:41], 2.0, -v[59:60]
	v_fma_f64 v[42:43], v[42:43], 2.0, -v[61:62]
	;; [unrolled: 1-line block ×8, first 2 shown]
	ds_store_b128 v10, v[40:43]
	ds_store_b128 v10, v[59:62] offset:64
	ds_store_b128 v7, v[44:47]
	scratch_store_b32 off, v7, off offset:156 ; 4-byte Folded Spill
	ds_store_b128 v7, v[63:66] offset:64
	ds_store_b128 v6, v[51:54]
	scratch_store_b32 off, v6, off offset:152 ; 4-byte Folded Spill
	;; [unrolled: 3-line block ×3, first 2 shown]
	ds_store_b128 v5, v[71:74] offset:64
	global_wb scope:SCOPE_SE
	s_wait_storecnt_dscnt 0x0
	s_barrier_signal -1
	s_barrier_wait -1
	global_inv scope:SCOPE_SE
	global_load_b128 v[40:43], v9, s[10:11] offset:96
	ds_load_b128 v[44:47], v132 offset:11264
	ds_load_b128 v[51:54], v132 offset:14080
	;; [unrolled: 1-line block ×4, first 2 shown]
	v_and_b32_e32 v5, 15, v255
	v_and_or_b32 v6, 0x1f0, v1, v4
	v_and_or_b32 v7, 0x3f0, v50, v4
	;; [unrolled: 1-line block ×3, first 2 shown]
	s_delay_alu instid0(VALU_DEP_4) | instskip(NEXT) | instid1(VALU_DEP_4)
	v_lshlrev_b32_e32 v9, 4, v5
	v_lshlrev_b32_e32 v10, 4, v6
	s_delay_alu instid0(VALU_DEP_4)
	v_lshlrev_b32_e32 v7, 4, v7
	v_lshlrev_b32_e32 v6, 4, v8
	;; [unrolled: 1-line block ×3, first 2 shown]
	v_and_b32_e32 v8, 31, v48
	s_wait_loadcnt_dscnt 0x3
	v_mul_f64_e32 v[63:64], v[46:47], v[42:43]
	v_mul_f64_e32 v[65:66], v[44:45], v[42:43]
	s_wait_dscnt 0x2
	v_mul_f64_e32 v[67:68], v[53:54], v[42:43]
	v_mul_f64_e32 v[69:70], v[51:52], v[42:43]
	s_wait_dscnt 0x1
	;; [unrolled: 3-line block ×3, first 2 shown]
	v_mul_f64_e32 v[75:76], v[61:62], v[42:43]
	v_mul_f64_e32 v[77:78], v[59:60], v[42:43]
	v_fma_f64 v[63:64], v[44:45], v[40:41], -v[63:64]
	v_fma_f64 v[65:66], v[46:47], v[40:41], v[65:66]
	v_fma_f64 v[67:68], v[51:52], v[40:41], -v[67:68]
	v_fma_f64 v[69:70], v[53:54], v[40:41], v[69:70]
	;; [unrolled: 2-line block ×4, first 2 shown]
	ds_load_b128 v[44:47], v132
	ds_load_b128 v[51:54], v132 offset:2816
	ds_load_b128 v[55:58], v132 offset:5632
	;; [unrolled: 1-line block ×3, first 2 shown]
	global_wb scope:SCOPE_SE
	s_wait_dscnt 0x0
	s_barrier_signal -1
	s_barrier_wait -1
	global_inv scope:SCOPE_SE
	scratch_store_b32 off, v10, off offset:176 ; 4-byte Folded Spill
	v_add_f64_e64 v[63:64], v[44:45], -v[63:64]
	v_add_f64_e64 v[65:66], v[46:47], -v[65:66]
	;; [unrolled: 1-line block ×8, first 2 shown]
	v_fma_f64 v[44:45], v[44:45], 2.0, -v[63:64]
	v_fma_f64 v[46:47], v[46:47], 2.0, -v[65:66]
	;; [unrolled: 1-line block ×8, first 2 shown]
	ds_store_b128 v10, v[44:47]
	ds_store_b128 v10, v[63:66] offset:128
	ds_store_b128 v7, v[51:54]
	scratch_store_b32 off, v7, off offset:172 ; 4-byte Folded Spill
	ds_store_b128 v7, v[67:70] offset:128
	ds_store_b128 v6, v[55:58]
	scratch_store_b32 off, v6, off offset:168 ; 4-byte Folded Spill
	;; [unrolled: 3-line block ×3, first 2 shown]
	ds_store_b128 v4, v[75:78] offset:128
	global_wb scope:SCOPE_SE
	s_wait_storecnt_dscnt 0x0
	s_barrier_signal -1
	s_barrier_wait -1
	global_inv scope:SCOPE_SE
	global_load_b128 v[44:47], v9, s[10:11] offset:224
	ds_load_b128 v[51:54], v132 offset:11264
	ds_load_b128 v[55:58], v132 offset:14080
	;; [unrolled: 1-line block ×4, first 2 shown]
	v_and_b32_e32 v4, 31, v255
	v_and_or_b32 v6, 0x1e0, v1, v5
	v_and_or_b32 v9, 0x3e0, v50, v5
	;; [unrolled: 1-line block ×4, first 2 shown]
	v_lshlrev_b32_e32 v7, 4, v4
	v_lshlrev_b32_e32 v12, 4, v6
	;; [unrolled: 1-line block ×6, first 2 shown]
	v_and_or_b32 v0, 0x1c0, v1, v4
	v_and_or_b32 v1, 0x3c0, v50, v3
	;; [unrolled: 1-line block ×3, first 2 shown]
	s_delay_alu instid0(VALU_DEP_2) | instskip(NEXT) | instid1(VALU_DEP_2)
	v_lshlrev_b32_e32 v4, 4, v1
	v_lshlrev_b32_e32 v1, 4, v2
	s_wait_loadcnt_dscnt 0x3
	v_mul_f64_e32 v[67:68], v[53:54], v[46:47]
	v_mul_f64_e32 v[69:70], v[51:52], v[46:47]
	s_wait_dscnt 0x2
	v_mul_f64_e32 v[71:72], v[57:58], v[46:47]
	v_mul_f64_e32 v[73:74], v[55:56], v[46:47]
	s_wait_dscnt 0x1
	;; [unrolled: 3-line block ×3, first 2 shown]
	v_mul_f64_e32 v[79:80], v[65:66], v[46:47]
	v_mul_f64_e32 v[81:82], v[63:64], v[46:47]
	v_fma_f64 v[67:68], v[51:52], v[44:45], -v[67:68]
	v_fma_f64 v[69:70], v[53:54], v[44:45], v[69:70]
	v_fma_f64 v[71:72], v[55:56], v[44:45], -v[71:72]
	v_fma_f64 v[73:74], v[57:58], v[44:45], v[73:74]
	;; [unrolled: 2-line block ×4, first 2 shown]
	ds_load_b128 v[51:54], v132
	ds_load_b128 v[55:58], v132 offset:2816
	ds_load_b128 v[59:62], v132 offset:5632
	;; [unrolled: 1-line block ×3, first 2 shown]
	global_wb scope:SCOPE_SE
	s_wait_dscnt 0x0
	s_barrier_signal -1
	s_barrier_wait -1
	global_inv scope:SCOPE_SE
	scratch_store_b32 off, v12, off offset:208 ; 4-byte Folded Spill
	v_add_f64_e64 v[67:68], v[51:52], -v[67:68]
	v_add_f64_e64 v[69:70], v[53:54], -v[69:70]
	;; [unrolled: 1-line block ×8, first 2 shown]
	v_fma_f64 v[51:52], v[51:52], 2.0, -v[67:68]
	v_fma_f64 v[53:54], v[53:54], 2.0, -v[69:70]
	;; [unrolled: 1-line block ×8, first 2 shown]
	ds_store_b128 v12, v[51:54]
	ds_store_b128 v12, v[67:70] offset:256
	ds_store_b128 v11, v[55:58]
	scratch_store_b32 off, v11, off offset:204 ; 4-byte Folded Spill
	ds_store_b128 v11, v[71:74] offset:256
	ds_store_b128 v9, v[59:62]
	scratch_store_b32 off, v9, off offset:196 ; 4-byte Folded Spill
	;; [unrolled: 3-line block ×3, first 2 shown]
	ds_store_b128 v5, v[79:82] offset:256
	global_wb scope:SCOPE_SE
	s_wait_storecnt_dscnt 0x0
	s_barrier_signal -1
	s_barrier_wait -1
	global_inv scope:SCOPE_SE
	s_clause 0x2
	global_load_b128 v[56:59], v7, s[10:11] offset:480
	global_load_b128 v[52:55], v6, s[10:11] offset:480
	global_load_b64 v[126:127], v6, s[10:11] offset:488
	v_lshlrev_b32_e32 v5, 4, v3
	v_and_or_b32 v3, 0x7c0, v49, v8
	global_load_b64 v[124:125], v5, s[10:11] offset:480
	ds_load_b128 v[60:63], v132 offset:11264
	ds_load_b128 v[64:67], v132 offset:14080
	;; [unrolled: 1-line block ×4, first 2 shown]
	v_lshlrev_b32_e32 v5, 4, v0
	v_lshlrev_b32_e32 v0, 4, v3
	s_wait_loadcnt_dscnt 0x303
	v_mul_f64_e32 v[76:77], v[62:63], v[58:59]
	v_mul_f64_e32 v[78:79], v[60:61], v[58:59]
	s_wait_loadcnt_dscnt 0x202
	v_mul_f64_e32 v[80:81], v[66:67], v[54:55]
	v_mul_f64_e32 v[82:83], v[64:65], v[54:55]
	s_wait_dscnt 0x1
	v_mul_f64_e32 v[84:85], v[70:71], v[58:59]
	v_mul_f64_e32 v[86:87], v[68:69], v[58:59]
	s_wait_loadcnt_dscnt 0x100
	v_mul_f64_e32 v[88:89], v[74:75], v[126:127]
	v_mul_f64_e32 v[90:91], v[72:73], v[126:127]
	v_fma_f64 v[76:77], v[60:61], v[56:57], -v[76:77]
	v_fma_f64 v[78:79], v[62:63], v[56:57], v[78:79]
	s_wait_loadcnt 0x0
	v_fma_f64 v[92:93], v[64:65], v[124:125], -v[80:81]
	v_fma_f64 v[94:95], v[66:67], v[124:125], v[82:83]
	v_fma_f64 v[96:97], v[68:69], v[56:57], -v[84:85]
	v_fma_f64 v[98:99], v[70:71], v[56:57], v[86:87]
	v_fma_f64 v[72:73], v[72:73], v[52:53], -v[88:89]
	v_fma_f64 v[74:75], v[74:75], v[52:53], v[90:91]
	ds_load_b128 v[60:63], v132
	ds_load_b128 v[68:71], v132 offset:2816
	ds_load_b128 v[80:83], v132 offset:5632
	;; [unrolled: 1-line block ×3, first 2 shown]
	global_wb scope:SCOPE_SE
	s_wait_dscnt 0x0
	s_barrier_signal -1
	s_barrier_wait -1
	global_inv scope:SCOPE_SE
	scratch_store_b32 off, v5, off offset:200 ; 4-byte Folded Spill
	v_add_f64_e64 v[64:65], v[60:61], -v[76:77]
	v_add_f64_e64 v[66:67], v[62:63], -v[78:79]
	;; [unrolled: 1-line block ×8, first 2 shown]
	v_fma_f64 v[96:97], v[60:61], 2.0, -v[64:65]
	v_fma_f64 v[98:99], v[62:63], 2.0, -v[66:67]
	;; [unrolled: 1-line block ×8, first 2 shown]
                                        ; implicit-def: $vgpr80_vgpr81
                                        ; implicit-def: $vgpr84_vgpr85
	ds_store_b128 v5, v[96:99]
	ds_store_b128 v5, v[64:67] offset:512
	ds_store_b128 v4, v[72:75]
	scratch_store_b32 off, v4, off offset:192 ; 4-byte Folded Spill
	ds_store_b128 v4, v[76:79] offset:512
	ds_store_b128 v1, v[88:91]
	scratch_store_b32 off, v1, off offset:184 ; 4-byte Folded Spill
	;; [unrolled: 3-line block ×3, first 2 shown]
	ds_store_b128 v0, v[92:95] offset:512
	global_wb scope:SCOPE_SE
	s_wait_storecnt_dscnt 0x0
	s_barrier_signal -1
	s_barrier_wait -1
	global_inv scope:SCOPE_SE
	s_and_saveexec_b32 s2, vcc_lo
	s_cbranch_execz .LBB0_3
; %bb.2:
	ds_load_b128 v[96:99], v132
	ds_load_b128 v[64:67], v132 offset:2048
	ds_load_b128 v[72:75], v132 offset:4096
	;; [unrolled: 1-line block ×10, first 2 shown]
.LBB0_3:
	s_wait_alu 0xfffe
	s_or_b32 exec_lo, exec_lo, s2
	v_and_b32_e32 v0, 63, v255
	s_mov_b32 s16, 0xf8bb580b
	s_mov_b32 s17, 0xbfe14ced
	;; [unrolled: 1-line block ×4, first 2 shown]
	v_mad_co_u64_u32 v[0:1], null, 0xa0, v0, s[10:11]
	s_mov_b32 s13, 0x3feaeb8c
	s_mov_b32 s15, 0xbfed1bb4
	;; [unrolled: 1-line block ×6, first 2 shown]
	s_clause 0x1
	global_load_b128 v[48:51], v[0:1], off offset:992
	global_load_b128 v[60:63], v[0:1], off offset:1008
	s_mov_b32 s18, 0x640f44db
	s_mov_b32 s19, 0xbfc2375f
	;; [unrolled: 1-line block ×15, first 2 shown]
	s_wait_alu 0xfffe
	s_mov_b32 s30, s16
	s_mov_b32 s39, 0x3fed1bb4
	;; [unrolled: 1-line block ×3, first 2 shown]
	s_wait_loadcnt_dscnt 0x109
	v_mul_f64_e32 v[2:3], v[66:67], v[50:51]
	s_delay_alu instid0(VALU_DEP_1) | instskip(SKIP_1) | instid1(VALU_DEP_1)
	v_fma_f64 v[159:160], v[64:65], v[48:49], -v[2:3]
	v_mul_f64_e32 v[2:3], v[64:65], v[50:51]
	v_fma_f64 v[161:162], v[66:67], v[48:49], v[2:3]
	s_clause 0x1
	global_load_b128 v[64:67], v[0:1], off offset:1136
	global_load_b128 v[68:71], v[0:1], off offset:1120
	s_wait_loadcnt_dscnt 0x100
	v_mul_f64_e32 v[2:3], v[84:85], v[66:67]
	s_delay_alu instid0(VALU_DEP_1) | instskip(SKIP_1) | instid1(VALU_DEP_2)
	v_fma_f64 v[130:131], v[86:87], v[64:65], v[2:3]
	v_mul_f64_e32 v[2:3], v[86:87], v[66:67]
	v_add_f64_e64 v[225:226], v[161:162], -v[130:131]
	s_delay_alu instid0(VALU_DEP_2) | instskip(SKIP_2) | instid1(VALU_DEP_4)
	v_fma_f64 v[133:134], v[84:85], v[64:65], -v[2:3]
	v_mul_f64_e32 v[2:3], v[74:75], v[62:63]
	v_add_f64_e32 v[247:248], v[161:162], v[130:131]
	v_mul_f64_e32 v[211:212], s[16:17], v[225:226]
	s_delay_alu instid0(VALU_DEP_4) | instskip(NEXT) | instid1(VALU_DEP_4)
	v_add_f64_e32 v[219:220], v[159:160], v[133:134]
	v_fma_f64 v[139:140], v[72:73], v[60:61], -v[2:3]
	v_mul_f64_e32 v[2:3], v[72:73], v[62:63]
	v_add_f64_e64 v[249:250], v[159:160], -v[133:134]
	v_mul_f64_e32 v[251:252], s[14:15], v[225:226]
	s_delay_alu instid0(VALU_DEP_3) | instskip(SKIP_2) | instid1(VALU_DEP_4)
	v_fma_f64 v[141:142], v[74:75], v[60:61], v[2:3]
	s_wait_loadcnt 0x0
	v_mul_f64_e32 v[2:3], v[80:81], v[70:71]
	v_mul_f64_e32 v[245:246], s[16:17], v[249:250]
	;; [unrolled: 1-line block ×3, first 2 shown]
	s_delay_alu instid0(VALU_DEP_3) | instskip(SKIP_1) | instid1(VALU_DEP_2)
	v_fma_f64 v[135:136], v[82:83], v[68:69], v[2:3]
	v_mul_f64_e32 v[2:3], v[82:83], v[70:71]
	v_add_f64_e64 v[163:164], v[141:142], -v[135:136]
	s_delay_alu instid0(VALU_DEP_2)
	v_fma_f64 v[137:138], v[80:81], v[68:69], -v[2:3]
	s_clause 0x1
	global_load_b128 v[72:75], v[0:1], off offset:1024
	global_load_b128 v[80:83], v[0:1], off offset:1040
	v_add_f64_e32 v[165:166], v[141:142], v[135:136]
	v_mul_f64_e32 v[157:158], s[14:15], v[163:164]
	v_add_f64_e64 v[173:174], v[139:140], -v[137:138]
	v_mul_f64_e32 v[207:208], s[34:35], v[163:164]
	v_mul_f64_e32 v[221:222], s[26:27], v[163:164]
	s_delay_alu instid0(VALU_DEP_3) | instskip(SKIP_2) | instid1(VALU_DEP_3)
	v_mul_f64_e32 v[167:168], s[14:15], v[173:174]
	v_mul_f64_e32 v[213:214], s[34:35], v[173:174]
	;; [unrolled: 1-line block ×3, first 2 shown]
	v_fma_f64 v[112:113], v[165:166], s[2:3], -v[167:168]
	s_delay_alu instid0(VALU_DEP_3) | instskip(NEXT) | instid1(VALU_DEP_3)
	v_fma_f64 v[116:117], v[165:166], s[22:23], -v[213:214]
	v_fma_f64 v[233:234], v[165:166], s[24:25], -v[231:232]
	s_wait_loadcnt 0x1
	v_mul_f64_e32 v[2:3], v[78:79], v[74:75]
	s_delay_alu instid0(VALU_DEP_1) | instskip(SKIP_1) | instid1(VALU_DEP_1)
	v_fma_f64 v[143:144], v[76:77], v[72:73], -v[2:3]
	v_mul_f64_e32 v[2:3], v[76:77], v[74:75]
	v_fma_f64 v[145:146], v[78:79], v[72:73], v[2:3]
	s_clause 0x1
	global_load_b128 v[76:79], v[0:1], off offset:1104
	global_load_b128 v[84:87], v[0:1], off offset:1088
	s_wait_loadcnt 0x1
	v_mul_f64_e32 v[2:3], v[108:109], v[78:79]
	s_delay_alu instid0(VALU_DEP_1) | instskip(SKIP_1) | instid1(VALU_DEP_2)
	v_fma_f64 v[147:148], v[110:111], v[76:77], v[2:3]
	v_mul_f64_e32 v[2:3], v[110:111], v[78:79]
	v_add_f64_e64 v[183:184], v[145:146], -v[147:148]
	s_delay_alu instid0(VALU_DEP_2) | instskip(SKIP_2) | instid1(VALU_DEP_4)
	v_fma_f64 v[108:109], v[108:109], v[76:77], -v[2:3]
	v_mul_f64_e32 v[2:3], v[90:91], v[82:83]
	v_add_f64_e32 v[175:176], v[145:146], v[147:148]
	v_mul_f64_e32 v[171:172], s[20:21], v[183:184]
	s_delay_alu instid0(VALU_DEP_4) | instskip(NEXT) | instid1(VALU_DEP_4)
	v_add_f64_e32 v[169:170], v[143:144], v[108:109]
	v_fma_f64 v[149:150], v[88:89], v[80:81], -v[2:3]
	v_mul_f64_e32 v[2:3], v[88:89], v[82:83]
	v_add_f64_e64 v[185:186], v[143:144], -v[108:109]
	v_mul_f64_e32 v[209:210], s[26:27], v[183:184]
	s_delay_alu instid0(VALU_DEP_3) | instskip(SKIP_2) | instid1(VALU_DEP_4)
	v_fma_f64 v[153:154], v[90:91], v[80:81], v[2:3]
	s_wait_loadcnt 0x0
	v_mul_f64_e32 v[2:3], v[94:95], v[86:87]
	v_mul_f64_e32 v[177:178], s[20:21], v[185:186]
	;; [unrolled: 1-line block ×4, first 2 shown]
	s_delay_alu instid0(VALU_DEP_4) | instskip(SKIP_1) | instid1(VALU_DEP_2)
	v_fma_f64 v[110:111], v[92:93], v[84:85], -v[2:3]
	v_mul_f64_e32 v[2:3], v[92:93], v[86:87]
	v_add_f64_e32 v[179:180], v[149:150], v[110:111]
	s_delay_alu instid0(VALU_DEP_2)
	v_fma_f64 v[151:152], v[94:95], v[84:85], v[2:3]
	s_clause 0x1
	global_load_b128 v[88:91], v[0:1], off offset:1056
	global_load_b128 v[92:95], v[0:1], off offset:1072
	v_add_f64_e64 v[201:202], v[149:150], -v[110:111]
	global_wb scope:SCOPE_SE
	s_wait_loadcnt 0x0
	s_barrier_signal -1
	s_barrier_wait -1
	global_inv scope:SCOPE_SE
	v_add_f64_e64 v[195:196], v[153:154], -v[151:152]
	v_add_f64_e32 v[191:192], v[153:154], v[151:152]
	v_mul_f64_e32 v[193:194], s[34:35], v[201:202]
	v_mul_f64_e32 v[227:228], s[36:37], v[201:202]
	;; [unrolled: 1-line block ×7, first 2 shown]
	s_delay_alu instid0(VALU_DEP_1) | instskip(SKIP_1) | instid1(VALU_DEP_1)
	v_fma_f64 v[155:156], v[100:101], v[88:89], -v[0:1]
	v_mul_f64_e32 v[0:1], v[100:101], v[90:91]
	v_fma_f64 v[102:103], v[102:103], v[88:89], v[0:1]
	v_mul_f64_e32 v[0:1], v[106:107], v[94:95]
	s_delay_alu instid0(VALU_DEP_1) | instskip(SKIP_1) | instid1(VALU_DEP_2)
	v_fma_f64 v[100:101], v[104:105], v[92:93], -v[0:1]
	v_mul_f64_e32 v[0:1], v[104:105], v[94:95]
	v_add_f64_e32 v[187:188], v[155:156], v[100:101]
	s_delay_alu instid0(VALU_DEP_2) | instskip(SKIP_3) | instid1(VALU_DEP_4)
	v_fma_f64 v[104:105], v[106:107], v[92:93], v[0:1]
	v_fma_f64 v[0:1], v[219:220], s[12:13], v[211:212]
	v_add_f64_e32 v[106:107], v[139:140], v[137:138]
	v_add_f64_e64 v[205:206], v[155:156], -v[100:101]
	v_add_f64_e64 v[203:204], v[102:103], -v[104:105]
	s_delay_alu instid0(VALU_DEP_4) | instskip(NEXT) | instid1(VALU_DEP_4)
	v_add_f64_e32 v[0:1], v[96:97], v[0:1]
	v_fma_f64 v[2:3], v[106:107], s[2:3], v[157:158]
	v_add_f64_e32 v[197:198], v[102:103], v[104:105]
	v_mul_f64_e32 v[199:200], s[28:29], v[205:206]
	v_mul_f64_e32 v[229:230], s[30:31], v[205:206]
	v_fma_f64 v[120:121], v[106:107], s[24:25], v[221:222]
	v_mul_f64_e32 v[189:190], s[28:29], v[203:204]
	v_mul_f64_e32 v[217:218], s[30:31], v[203:204]
	v_add_f64_e32 v[0:1], v[2:3], v[0:1]
	v_fma_f64 v[2:3], v[247:248], s[12:13], -v[245:246]
	s_delay_alu instid0(VALU_DEP_1) | instskip(NEXT) | instid1(VALU_DEP_1)
	v_add_f64_e32 v[2:3], v[98:99], v[2:3]
	v_add_f64_e32 v[2:3], v[112:113], v[2:3]
	v_fma_f64 v[112:113], v[169:170], s[18:19], v[171:172]
	s_delay_alu instid0(VALU_DEP_1) | instskip(SKIP_1) | instid1(VALU_DEP_1)
	v_add_f64_e32 v[0:1], v[112:113], v[0:1]
	v_fma_f64 v[112:113], v[175:176], s[18:19], -v[177:178]
	v_add_f64_e32 v[2:3], v[112:113], v[2:3]
	v_fma_f64 v[112:113], v[179:180], s[22:23], v[181:182]
	s_delay_alu instid0(VALU_DEP_1) | instskip(SKIP_1) | instid1(VALU_DEP_1)
	v_add_f64_e32 v[0:1], v[112:113], v[0:1]
	v_fma_f64 v[112:113], v[191:192], s[22:23], -v[193:194]
	;; [unrolled: 5-line block ×3, first 2 shown]
	v_add_f64_e32 v[114:115], v[0:1], v[2:3]
	v_fma_f64 v[0:1], v[219:220], s[2:3], v[251:252]
	v_fma_f64 v[2:3], v[106:107], s[22:23], v[207:208]
	s_delay_alu instid0(VALU_DEP_2) | instskip(NEXT) | instid1(VALU_DEP_1)
	v_add_f64_e32 v[0:1], v[96:97], v[0:1]
	v_add_f64_e32 v[0:1], v[2:3], v[0:1]
	v_fma_f64 v[2:3], v[247:248], s[2:3], -v[253:254]
	s_delay_alu instid0(VALU_DEP_1) | instskip(NEXT) | instid1(VALU_DEP_1)
	v_add_f64_e32 v[2:3], v[98:99], v[2:3]
	v_add_f64_e32 v[2:3], v[116:117], v[2:3]
	v_fma_f64 v[116:117], v[169:170], s[24:25], v[209:210]
	s_delay_alu instid0(VALU_DEP_1) | instskip(SKIP_1) | instid1(VALU_DEP_1)
	v_add_f64_e32 v[0:1], v[116:117], v[0:1]
	v_fma_f64 v[116:117], v[175:176], s[24:25], -v[223:224]
	v_add_f64_e32 v[2:3], v[116:117], v[2:3]
	v_fma_f64 v[116:117], v[179:180], s[18:19], v[215:216]
	s_delay_alu instid0(VALU_DEP_1) | instskip(SKIP_1) | instid1(VALU_DEP_1)
	v_add_f64_e32 v[0:1], v[116:117], v[0:1]
	v_fma_f64 v[116:117], v[191:192], s[18:19], -v[227:228]
	v_add_f64_e32 v[2:3], v[116:117], v[2:3]
	v_fma_f64 v[116:117], v[187:188], s[12:13], v[217:218]
	s_delay_alu instid0(VALU_DEP_1) | instskip(SKIP_1) | instid1(VALU_DEP_1)
	v_add_f64_e32 v[116:117], v[116:117], v[0:1]
	v_fma_f64 v[0:1], v[197:198], s[12:13], -v[229:230]
	v_add_f64_e32 v[118:119], v[0:1], v[2:3]
	v_mul_f64_e32 v[0:1], s[20:21], v[225:226]
	s_delay_alu instid0(VALU_DEP_1) | instskip(NEXT) | instid1(VALU_DEP_1)
	v_fma_f64 v[2:3], v[219:220], s[18:19], v[0:1]
	v_add_f64_e32 v[2:3], v[96:97], v[2:3]
	s_delay_alu instid0(VALU_DEP_1) | instskip(SKIP_1) | instid1(VALU_DEP_1)
	v_add_f64_e32 v[120:121], v[120:121], v[2:3]
	v_mul_f64_e32 v[2:3], s[20:21], v[249:250]
	v_fma_f64 v[122:123], v[247:248], s[18:19], -v[2:3]
	s_delay_alu instid0(VALU_DEP_1) | instskip(NEXT) | instid1(VALU_DEP_1)
	v_add_f64_e32 v[122:123], v[98:99], v[122:123]
	v_add_f64_e32 v[122:123], v[233:234], v[122:123]
	v_mul_f64_e32 v[233:234], s[38:39], v[183:184]
	s_delay_alu instid0(VALU_DEP_1) | instskip(NEXT) | instid1(VALU_DEP_1)
	v_fma_f64 v[235:236], v[169:170], s[2:3], v[233:234]
	v_add_f64_e32 v[120:121], v[235:236], v[120:121]
	v_fma_f64 v[235:236], v[175:176], s[2:3], -v[239:240]
	s_delay_alu instid0(VALU_DEP_1) | instskip(SKIP_1) | instid1(VALU_DEP_1)
	v_add_f64_e32 v[122:123], v[235:236], v[122:123]
	v_fma_f64 v[235:236], v[179:180], s[12:13], v[237:238]
	v_add_f64_e32 v[120:121], v[235:236], v[120:121]
	v_fma_f64 v[235:236], v[191:192], s[12:13], -v[241:242]
	s_delay_alu instid0(VALU_DEP_1) | instskip(SKIP_1) | instid1(VALU_DEP_1)
	v_add_f64_e32 v[122:123], v[235:236], v[122:123]
	v_mul_f64_e32 v[235:236], s[34:35], v[203:204]
	v_fma_f64 v[243:244], v[187:188], s[22:23], v[235:236]
	s_delay_alu instid0(VALU_DEP_1) | instskip(SKIP_1) | instid1(VALU_DEP_1)
	v_add_f64_e32 v[120:121], v[243:244], v[120:121]
	v_mul_f64_e32 v[243:244], s[34:35], v[205:206]
	v_fma_f64 v[4:5], v[197:198], s[22:23], -v[243:244]
	s_delay_alu instid0(VALU_DEP_1)
	v_add_f64_e32 v[122:123], v[4:5], v[122:123]
	s_and_saveexec_b32 s33, vcc_lo
	s_cbranch_execz .LBB0_5
; %bb.4:
	v_mul_f64_e32 v[4:5], s[24:25], v[247:248]
	v_mul_f64_e32 v[8:9], s[22:23], v[247:248]
	s_mov_b32 s41, 0x3fe82f19
	s_mov_b32 s40, s34
	v_mul_f64_e32 v[18:19], s[12:13], v[165:166]
	v_mul_f64_e32 v[22:23], s[18:19], v[197:198]
	v_mul_f64_e32 v[24:25], s[20:21], v[203:204]
	v_mul_f64_e32 v[26:27], s[12:13], v[197:198]
	v_fma_f64 v[6:7], v[249:250], s[26:27], v[4:5]
	v_fma_f64 v[4:5], v[249:250], s[28:29], v[4:5]
	;; [unrolled: 1-line block ×4, first 2 shown]
	v_mul_f64_e32 v[249:250], s[18:19], v[247:248]
	v_add_f64_e32 v[26:27], v[229:230], v[26:27]
	v_add_f64_e32 v[6:7], v[98:99], v[6:7]
	;; [unrolled: 1-line block ×6, first 2 shown]
	v_mul_f64_e32 v[249:250], s[2:3], v[247:248]
	v_mul_f64_e32 v[247:248], s[12:13], v[247:248]
	s_delay_alu instid0(VALU_DEP_2) | instskip(SKIP_1) | instid1(VALU_DEP_3)
	v_add_f64_e32 v[249:250], v[253:254], v[249:250]
	v_mul_f64_e32 v[253:254], s[2:3], v[219:220]
	v_add_f64_e32 v[245:246], v[245:246], v[247:248]
	v_mul_f64_e32 v[247:248], s[28:29], v[225:226]
	v_mul_f64_e32 v[225:226], s[34:35], v[225:226]
	v_add_f64_e32 v[249:250], v[98:99], v[249:250]
	v_add_f64_e64 v[251:252], v[253:254], -v[251:252]
	v_mul_f64_e32 v[253:254], s[18:19], v[219:220]
	v_add_f64_e32 v[245:246], v[98:99], v[245:246]
	v_fma_f64 v[12:13], v[219:220], s[22:23], -v[225:226]
	v_fma_f64 v[14:15], v[219:220], s[22:23], v[225:226]
	v_add_f64_e32 v[225:226], v[96:97], v[159:160]
	v_add_f64_e32 v[251:252], v[96:97], v[251:252]
	v_add_f64_e64 v[0:1], v[253:254], -v[0:1]
	v_fma_f64 v[253:254], v[219:220], s[24:25], v[247:248]
	v_fma_f64 v[247:248], v[219:220], s[24:25], -v[247:248]
	v_mul_f64_e32 v[219:220], s[12:13], v[219:220]
	v_add_f64_e32 v[12:13], v[96:97], v[12:13]
	v_add_f64_e32 v[14:15], v[96:97], v[14:15]
	;; [unrolled: 1-line block ×4, first 2 shown]
	v_add_f64_e64 v[211:212], v[219:220], -v[211:212]
	v_add_f64_e32 v[219:220], v[98:99], v[161:162]
	v_add_f64_e32 v[161:162], v[96:97], v[247:248]
	v_fma_f64 v[0:1], v[173:174], s[16:17], v[18:19]
	v_add_f64_e32 v[247:248], v[98:99], v[2:3]
	v_fma_f64 v[18:19], v[173:174], s[30:31], v[18:19]
	v_add_f64_e32 v[16:17], v[96:97], v[211:212]
	v_mul_f64_e32 v[96:97], s[22:23], v[175:176]
	v_add_f64_e32 v[0:1], v[0:1], v[6:7]
	v_mul_f64_e32 v[6:7], s[30:31], v[163:164]
	v_add_f64_e32 v[4:5], v[18:19], v[4:5]
	s_delay_alu instid0(VALU_DEP_4) | instskip(SKIP_1) | instid1(VALU_DEP_4)
	v_fma_f64 v[98:99], v[185:186], s[40:41], v[96:97]
	v_fma_f64 v[18:19], v[185:186], s[34:35], v[96:97]
	;; [unrolled: 1-line block ×3, first 2 shown]
	v_fma_f64 v[6:7], v[106:107], s[12:13], -v[6:7]
	s_delay_alu instid0(VALU_DEP_4) | instskip(SKIP_4) | instid1(VALU_DEP_4)
	v_add_f64_e32 v[0:1], v[98:99], v[0:1]
	v_mul_f64_e32 v[98:99], s[34:35], v[183:184]
	v_add_f64_e32 v[4:5], v[18:19], v[4:5]
	v_add_f64_e32 v[2:3], v[2:3], v[159:160]
	;; [unrolled: 1-line block ×3, first 2 shown]
	v_fma_f64 v[159:160], v[169:170], s[22:23], v[98:99]
	v_fma_f64 v[18:19], v[169:170], s[22:23], -v[98:99]
	s_delay_alu instid0(VALU_DEP_2) | instskip(SKIP_1) | instid1(VALU_DEP_3)
	v_add_f64_e32 v[2:3], v[159:160], v[2:3]
	v_mul_f64_e32 v[159:160], s[2:3], v[191:192]
	v_add_f64_e32 v[6:7], v[18:19], v[6:7]
	s_delay_alu instid0(VALU_DEP_2) | instskip(SKIP_1) | instid1(VALU_DEP_2)
	v_fma_f64 v[211:212], v[201:202], s[14:15], v[159:160]
	v_fma_f64 v[18:19], v[201:202], s[38:39], v[159:160]
	v_add_f64_e32 v[0:1], v[211:212], v[0:1]
	v_mul_f64_e32 v[211:212], s[38:39], v[195:196]
	s_delay_alu instid0(VALU_DEP_3) | instskip(NEXT) | instid1(VALU_DEP_2)
	v_add_f64_e32 v[4:5], v[18:19], v[4:5]
	v_fma_f64 v[20:21], v[179:180], s[2:3], v[211:212]
	v_fma_f64 v[18:19], v[179:180], s[2:3], -v[211:212]
	s_delay_alu instid0(VALU_DEP_2) | instskip(SKIP_1) | instid1(VALU_DEP_3)
	v_add_f64_e32 v[20:21], v[20:21], v[2:3]
	v_fma_f64 v[2:3], v[205:206], s[36:37], v[22:23]
	v_add_f64_e32 v[6:7], v[18:19], v[6:7]
	v_fma_f64 v[18:19], v[205:206], s[20:21], v[22:23]
	v_mul_f64_e32 v[22:23], s[18:19], v[191:192]
	s_delay_alu instid0(VALU_DEP_4) | instskip(SKIP_1) | instid1(VALU_DEP_4)
	v_add_f64_e32 v[2:3], v[2:3], v[0:1]
	v_fma_f64 v[0:1], v[187:188], s[18:19], v[24:25]
	v_add_f64_e32 v[98:99], v[18:19], v[4:5]
	v_mul_f64_e32 v[4:5], s[22:23], v[165:166]
	v_mul_f64_e32 v[18:19], s[24:25], v[175:176]
	v_add_f64_e32 v[22:23], v[227:228], v[22:23]
	v_add_f64_e32 v[0:1], v[0:1], v[20:21]
	v_fma_f64 v[20:21], v[187:188], s[18:19], -v[24:25]
	v_add_f64_e32 v[4:5], v[213:214], v[4:5]
	v_add_f64_e32 v[18:19], v[223:224], v[18:19]
	v_mul_f64_e32 v[24:25], s[18:19], v[179:180]
	s_delay_alu instid0(VALU_DEP_4) | instskip(SKIP_4) | instid1(VALU_DEP_4)
	v_add_f64_e32 v[96:97], v[20:21], v[6:7]
	v_mul_f64_e32 v[6:7], s[22:23], v[106:107]
	v_mul_f64_e32 v[20:21], s[24:25], v[169:170]
	v_add_f64_e32 v[4:5], v[4:5], v[249:250]
	v_add_f64_e64 v[24:25], v[24:25], -v[215:216]
	v_add_f64_e64 v[6:7], v[6:7], -v[207:208]
	s_delay_alu instid0(VALU_DEP_4) | instskip(NEXT) | instid1(VALU_DEP_4)
	v_add_f64_e64 v[20:21], v[20:21], -v[209:210]
	v_add_f64_e32 v[4:5], v[18:19], v[4:5]
	v_mul_f64_e32 v[18:19], s[12:13], v[187:188]
	s_delay_alu instid0(VALU_DEP_4) | instskip(NEXT) | instid1(VALU_DEP_3)
	v_add_f64_e32 v[6:7], v[6:7], v[251:252]
	v_add_f64_e32 v[4:5], v[22:23], v[4:5]
	s_delay_alu instid0(VALU_DEP_3) | instskip(SKIP_1) | instid1(VALU_DEP_4)
	v_add_f64_e64 v[18:19], v[18:19], -v[217:218]
	v_mul_f64_e32 v[22:23], s[12:13], v[191:192]
	v_add_f64_e32 v[6:7], v[20:21], v[6:7]
	v_mul_f64_e32 v[20:21], s[2:3], v[169:170]
	v_add_f64_e32 v[161:162], v[26:27], v[4:5]
	;; [unrolled: 2-line block ×4, first 2 shown]
	v_add_f64_e64 v[20:21], v[20:21], -v[233:234]
	v_mul_f64_e32 v[24:25], s[12:13], v[179:180]
	v_add_f64_e32 v[4:5], v[231:232], v[4:5]
	v_add_f64_e32 v[26:27], v[243:244], v[26:27]
	;; [unrolled: 1-line block ×3, first 2 shown]
	v_mul_f64_e32 v[6:7], s[24:25], v[106:107]
	v_mul_f64_e32 v[18:19], s[2:3], v[175:176]
	v_add_f64_e32 v[4:5], v[4:5], v[247:248]
	v_add_f64_e64 v[24:25], v[24:25], -v[237:238]
	s_delay_alu instid0(VALU_DEP_4) | instskip(NEXT) | instid1(VALU_DEP_4)
	v_add_f64_e64 v[6:7], v[6:7], -v[221:222]
	v_add_f64_e32 v[18:19], v[239:240], v[18:19]
	s_delay_alu instid0(VALU_DEP_2) | instskip(NEXT) | instid1(VALU_DEP_2)
	v_add_f64_e32 v[6:7], v[6:7], v[253:254]
	v_add_f64_e32 v[4:5], v[18:19], v[4:5]
	v_mul_f64_e32 v[18:19], s[22:23], v[187:188]
	s_delay_alu instid0(VALU_DEP_3) | instskip(NEXT) | instid1(VALU_DEP_3)
	v_add_f64_e32 v[6:7], v[20:21], v[6:7]
	v_add_f64_e32 v[4:5], v[22:23], v[4:5]
	s_delay_alu instid0(VALU_DEP_3) | instskip(NEXT) | instid1(VALU_DEP_3)
	v_add_f64_e64 v[18:19], v[18:19], -v[235:236]
	v_add_f64_e32 v[6:7], v[24:25], v[6:7]
	s_delay_alu instid0(VALU_DEP_3) | instskip(SKIP_1) | instid1(VALU_DEP_3)
	v_add_f64_e32 v[209:210], v[26:27], v[4:5]
	v_mul_f64_e32 v[4:5], s[18:19], v[165:166]
	v_add_f64_e32 v[207:208], v[18:19], v[6:7]
	s_delay_alu instid0(VALU_DEP_2) | instskip(SKIP_1) | instid1(VALU_DEP_2)
	v_fma_f64 v[6:7], v[173:174], s[36:37], v[4:5]
	v_fma_f64 v[4:5], v[173:174], s[20:21], v[4:5]
	v_add_f64_e32 v[6:7], v[6:7], v[8:9]
	v_mul_f64_e32 v[8:9], s[36:37], v[163:164]
	v_mul_f64_e32 v[163:164], s[2:3], v[197:198]
	s_delay_alu instid0(VALU_DEP_4) | instskip(SKIP_1) | instid1(VALU_DEP_4)
	v_add_f64_e32 v[4:5], v[4:5], v[10:11]
	v_mul_f64_e32 v[10:11], s[18:19], v[169:170]
	v_fma_f64 v[18:19], v[106:107], s[18:19], -v[8:9]
	v_fma_f64 v[8:9], v[106:107], s[18:19], v[8:9]
	s_delay_alu instid0(VALU_DEP_3) | instskip(NEXT) | instid1(VALU_DEP_3)
	v_add_f64_e64 v[10:11], v[10:11], -v[171:172]
	v_add_f64_e32 v[12:13], v[18:19], v[12:13]
	v_mul_f64_e32 v[18:19], s[12:13], v[175:176]
	s_delay_alu instid0(VALU_DEP_4) | instskip(SKIP_1) | instid1(VALU_DEP_3)
	v_add_f64_e32 v[8:9], v[8:9], v[14:15]
	v_mul_f64_e32 v[14:15], s[22:23], v[179:180]
	v_fma_f64 v[20:21], v[185:186], s[16:17], v[18:19]
	s_delay_alu instid0(VALU_DEP_2) | instskip(NEXT) | instid1(VALU_DEP_2)
	v_add_f64_e64 v[14:15], v[14:15], -v[181:182]
	v_add_f64_e32 v[6:7], v[20:21], v[6:7]
	v_mul_f64_e32 v[20:21], s[16:17], v[183:184]
	v_fma_f64 v[183:184], v[205:206], s[38:39], v[163:164]
	s_delay_alu instid0(VALU_DEP_2) | instskip(NEXT) | instid1(VALU_DEP_1)
	v_fma_f64 v[22:23], v[169:170], s[12:13], -v[20:21]
	v_add_f64_e32 v[12:13], v[22:23], v[12:13]
	v_mul_f64_e32 v[22:23], s[24:25], v[191:192]
	s_delay_alu instid0(VALU_DEP_1) | instskip(NEXT) | instid1(VALU_DEP_1)
	v_fma_f64 v[24:25], v[201:202], s[28:29], v[22:23]
	v_add_f64_e32 v[6:7], v[24:25], v[6:7]
	v_mul_f64_e32 v[24:25], s[28:29], v[195:196]
	s_delay_alu instid0(VALU_DEP_2) | instskip(NEXT) | instid1(VALU_DEP_2)
	v_add_f64_e32 v[213:214], v[183:184], v[6:7]
	v_fma_f64 v[26:27], v[179:180], s[24:25], -v[24:25]
	s_delay_alu instid0(VALU_DEP_1) | instskip(SKIP_1) | instid1(VALU_DEP_1)
	v_add_f64_e32 v[12:13], v[26:27], v[12:13]
	v_mul_f64_e32 v[26:27], s[38:39], v[203:204]
	v_fma_f64 v[6:7], v[187:188], s[2:3], -v[26:27]
	s_delay_alu instid0(VALU_DEP_1) | instskip(SKIP_3) | instid1(VALU_DEP_3)
	v_add_f64_e32 v[211:212], v[6:7], v[12:13]
	v_fma_f64 v[6:7], v[185:186], s[30:31], v[18:19]
	v_fma_f64 v[12:13], v[201:202], s[26:27], v[22:23]
	;; [unrolled: 1-line block ×3, first 2 shown]
	v_add_f64_e32 v[4:5], v[6:7], v[4:5]
	v_fma_f64 v[6:7], v[169:170], s[12:13], v[20:21]
	s_delay_alu instid0(VALU_DEP_2) | instskip(NEXT) | instid1(VALU_DEP_2)
	v_add_f64_e32 v[4:5], v[12:13], v[4:5]
	v_add_f64_e32 v[6:7], v[6:7], v[8:9]
	v_fma_f64 v[8:9], v[179:180], s[24:25], v[24:25]
	v_mul_f64_e32 v[12:13], s[22:23], v[191:192]
	s_delay_alu instid0(VALU_DEP_4) | instskip(SKIP_1) | instid1(VALU_DEP_4)
	v_add_f64_e32 v[185:186], v[18:19], v[4:5]
	v_mul_f64_e32 v[4:5], s[2:3], v[165:166]
	v_add_f64_e32 v[6:7], v[8:9], v[6:7]
	v_fma_f64 v[8:9], v[187:188], s[2:3], v[26:27]
	v_add_f64_e32 v[12:13], v[193:194], v[12:13]
	s_delay_alu instid0(VALU_DEP_4) | instskip(NEXT) | instid1(VALU_DEP_3)
	v_add_f64_e32 v[4:5], v[167:168], v[4:5]
	v_add_f64_e32 v[183:184], v[8:9], v[6:7]
	v_mul_f64_e32 v[6:7], s[2:3], v[106:107]
	v_mul_f64_e32 v[8:9], s[18:19], v[175:176]
	s_delay_alu instid0(VALU_DEP_4) | instskip(NEXT) | instid1(VALU_DEP_3)
	v_add_f64_e32 v[4:5], v[4:5], v[245:246]
	v_add_f64_e64 v[6:7], v[6:7], -v[157:158]
	s_delay_alu instid0(VALU_DEP_3) | instskip(NEXT) | instid1(VALU_DEP_2)
	v_add_f64_e32 v[8:9], v[177:178], v[8:9]
	v_add_f64_e32 v[6:7], v[6:7], v[16:17]
	v_mul_f64_e32 v[16:17], s[24:25], v[197:198]
	s_delay_alu instid0(VALU_DEP_3) | instskip(SKIP_1) | instid1(VALU_DEP_4)
	v_add_f64_e32 v[4:5], v[8:9], v[4:5]
	v_mul_f64_e32 v[8:9], s[24:25], v[187:188]
	v_add_f64_e32 v[6:7], v[10:11], v[6:7]
	s_delay_alu instid0(VALU_DEP_4) | instskip(NEXT) | instid1(VALU_DEP_4)
	v_add_f64_e32 v[16:17], v[199:200], v[16:17]
	v_add_f64_e32 v[4:5], v[12:13], v[4:5]
	s_delay_alu instid0(VALU_DEP_4) | instskip(NEXT) | instid1(VALU_DEP_4)
	v_add_f64_e64 v[8:9], v[8:9], -v[189:190]
	v_add_f64_e32 v[6:7], v[14:15], v[6:7]
	s_delay_alu instid0(VALU_DEP_3) | instskip(SKIP_1) | instid1(VALU_DEP_3)
	v_add_f64_e32 v[165:166], v[16:17], v[4:5]
	v_add_f64_e32 v[4:5], v[219:220], v[141:142]
	;; [unrolled: 1-line block ×4, first 2 shown]
	s_delay_alu instid0(VALU_DEP_3) | instskip(NEXT) | instid1(VALU_DEP_2)
	v_add_f64_e32 v[4:5], v[4:5], v[145:146]
	v_add_f64_e32 v[6:7], v[6:7], v[143:144]
	s_delay_alu instid0(VALU_DEP_2) | instskip(NEXT) | instid1(VALU_DEP_2)
	v_add_f64_e32 v[4:5], v[4:5], v[153:154]
	v_add_f64_e32 v[6:7], v[6:7], v[149:150]
	s_delay_alu instid0(VALU_DEP_2) | instskip(NEXT) | instid1(VALU_DEP_2)
	v_add_f64_e32 v[4:5], v[4:5], v[102:103]
	v_add_f64_e32 v[6:7], v[6:7], v[155:156]
	s_delay_alu instid0(VALU_DEP_2) | instskip(NEXT) | instid1(VALU_DEP_2)
	v_add_f64_e32 v[4:5], v[4:5], v[104:105]
	v_add_f64_e32 v[6:7], v[6:7], v[100:101]
	s_delay_alu instid0(VALU_DEP_2) | instskip(NEXT) | instid1(VALU_DEP_2)
	v_add_f64_e32 v[4:5], v[4:5], v[151:152]
	v_add_f64_e32 v[6:7], v[6:7], v[110:111]
	s_delay_alu instid0(VALU_DEP_2) | instskip(NEXT) | instid1(VALU_DEP_2)
	v_add_f64_e32 v[4:5], v[4:5], v[147:148]
	v_add_f64_e32 v[6:7], v[6:7], v[108:109]
	s_delay_alu instid0(VALU_DEP_2) | instskip(NEXT) | instid1(VALU_DEP_2)
	v_add_f64_e32 v[4:5], v[4:5], v[135:136]
	v_add_f64_e32 v[6:7], v[6:7], v[137:138]
	s_delay_alu instid0(VALU_DEP_2) | instskip(SKIP_2) | instid1(VALU_DEP_2)
	v_add_f64_e32 v[102:103], v[4:5], v[130:131]
	v_lshrrev_b32_e32 v4, 6, v255
	v_and_b32_e32 v5, 63, v255
	v_mul_u32_u24_e32 v4, 0x2c0, v4
	s_delay_alu instid0(VALU_DEP_1) | instskip(NEXT) | instid1(VALU_DEP_1)
	v_or_b32_e32 v4, v4, v5
	v_lshlrev_b32_e32 v4, 4, v4
	v_add_f64_e32 v[100:101], v[6:7], v[133:134]
	ds_store_b128 v4, v[159:162] offset:2048
	ds_store_b128 v4, v[120:123] offset:8192
	ds_store_b128 v4, v[116:119] offset:9216
	ds_store_b128 v4, v[207:210] offset:3072
	ds_store_b128 v4, v[211:214] offset:4096
	ds_store_b128 v4, v[96:99] offset:5120
	ds_store_b128 v4, v[0:3] offset:6144
	ds_store_b128 v4, v[183:186] offset:7168
	ds_store_b128 v4, v[163:166] offset:1024
	ds_store_b128 v4, v[100:103]
	ds_store_b128 v4, v[112:115] offset:10240
.LBB0_5:
	s_or_b32 exec_lo, exec_lo, s33
	global_wb scope:SCOPE_SE
	s_wait_dscnt 0x0
	s_barrier_signal -1
	s_barrier_wait -1
	global_inv scope:SCOPE_SE
	s_clause 0x3
	global_load_b128 v[96:99], v132, s[10:11] offset:11232
	global_load_b128 v[100:103], v132, s[10:11] offset:14048
	;; [unrolled: 1-line block ×4, first 2 shown]
	ds_load_b128 v[0:3], v132 offset:11264
	ds_load_b128 v[133:136], v132 offset:14080
	;; [unrolled: 1-line block ×4, first 2 shown]
	s_add_nc_u64 s[2:3], s[8:9], 0x5800
	s_wait_loadcnt_dscnt 0x303
	v_mul_f64_e32 v[4:5], v[2:3], v[98:99]
	v_mul_f64_e32 v[6:7], v[0:1], v[98:99]
	s_wait_loadcnt_dscnt 0x202
	v_mul_f64_e32 v[8:9], v[135:136], v[102:103]
	v_mul_f64_e32 v[10:11], v[133:134], v[102:103]
	;; [unrolled: 3-line block ×4, first 2 shown]
	v_fma_f64 v[4:5], v[0:1], v[96:97], -v[4:5]
	v_fma_f64 v[6:7], v[2:3], v[96:97], v[6:7]
	v_fma_f64 v[8:9], v[133:134], v[100:101], -v[8:9]
	v_fma_f64 v[10:11], v[135:136], v[100:101], v[10:11]
	;; [unrolled: 2-line block ×4, first 2 shown]
	ds_load_b128 v[0:3], v132
	ds_load_b128 v[133:136], v132 offset:2816
	ds_load_b128 v[137:140], v132 offset:5632
	;; [unrolled: 1-line block ×3, first 2 shown]
	s_wait_dscnt 0x3
	v_add_f64_e64 v[145:146], v[0:1], -v[4:5]
	v_add_f64_e64 v[147:148], v[2:3], -v[6:7]
	s_wait_dscnt 0x2
	v_add_f64_e64 v[149:150], v[133:134], -v[8:9]
	v_add_f64_e64 v[151:152], v[135:136], -v[10:11]
	;; [unrolled: 3-line block ×4, first 2 shown]
	v_fma_f64 v[0:1], v[0:1], 2.0, -v[145:146]
	v_fma_f64 v[2:3], v[2:3], 2.0, -v[147:148]
	;; [unrolled: 1-line block ×8, first 2 shown]
	ds_store_b128 v132, v[145:148] offset:11264
	ds_store_b128 v132, v[149:152] offset:14080
	;; [unrolled: 1-line block ×4, first 2 shown]
	ds_store_b128 v132, v[0:3]
	ds_store_b128 v132, v[133:136] offset:2816
	ds_store_b128 v132, v[137:140] offset:5632
	;; [unrolled: 1-line block ×3, first 2 shown]
	global_wb scope:SCOPE_SE
	s_wait_dscnt 0x0
	s_barrier_signal -1
	s_barrier_wait -1
	global_inv scope:SCOPE_SE
	s_clause 0x7
	global_load_b128 v[0:3], v[128:129], off offset:22528
	global_load_b128 v[128:131], v132, s[2:3] offset:11264
	global_load_b128 v[133:136], v132, s[2:3] offset:2816
	;; [unrolled: 1-line block ×7, first 2 shown]
	ds_load_b128 v[157:160], v132
	ds_load_b128 v[161:164], v132 offset:11264
	ds_load_b128 v[165:168], v132 offset:2816
	ds_load_b128 v[169:172], v132 offset:14080
	ds_load_b128 v[173:176], v132 offset:5632
	ds_load_b128 v[177:180], v132 offset:16896
	ds_load_b128 v[181:184], v132 offset:8448
	ds_load_b128 v[185:188], v132 offset:19712
	s_wait_loadcnt_dscnt 0x707
	v_mul_f64_e32 v[4:5], v[159:160], v[2:3]
	v_mul_f64_e32 v[2:3], v[157:158], v[2:3]
	s_wait_loadcnt_dscnt 0x606
	v_mul_f64_e32 v[6:7], v[163:164], v[130:131]
	v_mul_f64_e32 v[8:9], v[161:162], v[130:131]
	;; [unrolled: 3-line block ×8, first 2 shown]
	v_fma_f64 v[155:156], v[157:158], v[0:1], -v[4:5]
	v_fma_f64 v[157:158], v[159:160], v[0:1], v[2:3]
	v_fma_f64 v[0:1], v[161:162], v[128:129], -v[6:7]
	v_fma_f64 v[2:3], v[163:164], v[128:129], v[8:9]
	;; [unrolled: 2-line block ×8, first 2 shown]
	v_lshlrev_b32_e32 v4, 5, v255
	ds_store_b128 v132, v[155:158]
	ds_store_b128 v132, v[128:131] offset:2816
	ds_store_b128 v132, v[0:3] offset:11264
	;; [unrolled: 1-line block ×7, first 2 shown]
	global_wb scope:SCOPE_SE
	s_wait_dscnt 0x0
	s_barrier_signal -1
	s_barrier_wait -1
	global_inv scope:SCOPE_SE
	ds_load_b128 v[0:3], v132 offset:11264
	ds_load_b128 v[128:131], v132
	ds_load_b128 v[133:136], v132 offset:2816
	ds_load_b128 v[137:140], v132 offset:14080
	;; [unrolled: 1-line block ×6, first 2 shown]
	global_wb scope:SCOPE_SE
	s_wait_dscnt 0x0
	s_barrier_signal -1
	s_barrier_wait -1
	global_inv scope:SCOPE_SE
	v_add_f64_e64 v[0:1], v[128:129], -v[0:1]
	v_add_f64_e64 v[2:3], v[130:131], -v[2:3]
	;; [unrolled: 1-line block ×8, first 2 shown]
	v_fma_f64 v[128:129], v[128:129], 2.0, -v[0:1]
	v_fma_f64 v[130:131], v[130:131], 2.0, -v[2:3]
	;; [unrolled: 1-line block ×8, first 2 shown]
	ds_store_b128 v4, v[128:131]
	ds_store_b128 v4, v[0:3] offset:16
	scratch_load_b32 v0, off, off offset:128 th:TH_LOAD_LU ; 4-byte Folded Reload
	s_wait_loadcnt 0x0
	ds_store_b128 v0, v[133:136]
	ds_store_b128 v0, v[137:140] offset:16
	scratch_load_b32 v0, off, off offset:124 th:TH_LOAD_LU ; 4-byte Folded Reload
	s_wait_loadcnt 0x0
	ds_store_b128 v0, v[145:148]
	ds_store_b128 v0, v[141:144] offset:16
	scratch_load_b32 v0, off, off offset:120 th:TH_LOAD_LU ; 4-byte Folded Reload
	s_wait_loadcnt 0x0
	ds_store_b128 v0, v[149:152]
	ds_store_b128 v0, v[153:156] offset:16
	global_wb scope:SCOPE_SE
	s_wait_dscnt 0x0
	s_barrier_signal -1
	s_barrier_wait -1
	global_inv scope:SCOPE_SE
	ds_load_b128 v[0:3], v132 offset:11264
	ds_load_b128 v[128:131], v132 offset:14080
	;; [unrolled: 1-line block ×4, first 2 shown]
	s_wait_dscnt 0x3
	v_mul_f64_e32 v[4:5], v[34:35], v[2:3]
	v_mul_f64_e32 v[6:7], v[34:35], v[0:1]
	s_wait_dscnt 0x2
	v_mul_f64_e32 v[8:9], v[34:35], v[130:131]
	v_mul_f64_e32 v[10:11], v[34:35], v[128:129]
	;; [unrolled: 3-line block ×4, first 2 shown]
	v_fma_f64 v[4:5], v[32:33], v[0:1], v[4:5]
	v_fma_f64 v[6:7], v[32:33], v[2:3], -v[6:7]
	v_fma_f64 v[8:9], v[32:33], v[128:129], v[8:9]
	v_fma_f64 v[10:11], v[32:33], v[130:131], -v[10:11]
	;; [unrolled: 2-line block ×4, first 2 shown]
	ds_load_b128 v[0:3], v132
	ds_load_b128 v[32:35], v132 offset:2816
	ds_load_b128 v[128:131], v132 offset:5632
	;; [unrolled: 1-line block ×3, first 2 shown]
	global_wb scope:SCOPE_SE
	s_wait_dscnt 0x0
	s_barrier_signal -1
	s_barrier_wait -1
	global_inv scope:SCOPE_SE
	v_add_f64_e64 v[137:138], v[0:1], -v[4:5]
	scratch_load_b32 v4, off, off offset:144 th:TH_LOAD_LU ; 4-byte Folded Reload
	v_add_f64_e64 v[139:140], v[2:3], -v[6:7]
	v_add_f64_e64 v[141:142], v[32:33], -v[8:9]
	;; [unrolled: 1-line block ×7, first 2 shown]
	v_fma_f64 v[0:1], v[0:1], 2.0, -v[137:138]
	v_fma_f64 v[2:3], v[2:3], 2.0, -v[139:140]
	;; [unrolled: 1-line block ×8, first 2 shown]
	s_wait_loadcnt 0x0
	ds_store_b128 v4, v[0:3]
	ds_store_b128 v4, v[137:140] offset:32
	scratch_load_b32 v0, off, off offset:140 th:TH_LOAD_LU ; 4-byte Folded Reload
	s_wait_loadcnt 0x0
	ds_store_b128 v0, v[32:35]
	ds_store_b128 v0, v[141:144] offset:32
	scratch_load_b32 v0, off, off offset:136 th:TH_LOAD_LU ; 4-byte Folded Reload
	;; [unrolled: 4-line block ×3, first 2 shown]
	s_wait_loadcnt 0x0
	ds_store_b128 v0, v[133:136]
	ds_store_b128 v0, v[149:152] offset:32
	global_wb scope:SCOPE_SE
	s_wait_dscnt 0x0
	s_barrier_signal -1
	s_barrier_wait -1
	global_inv scope:SCOPE_SE
	ds_load_b128 v[0:3], v132 offset:11264
	ds_load_b128 v[32:35], v132 offset:14080
	;; [unrolled: 1-line block ×4, first 2 shown]
	s_wait_dscnt 0x3
	v_mul_f64_e32 v[4:5], v[38:39], v[2:3]
	v_mul_f64_e32 v[6:7], v[38:39], v[0:1]
	s_wait_dscnt 0x2
	v_mul_f64_e32 v[8:9], v[38:39], v[34:35]
	v_mul_f64_e32 v[10:11], v[38:39], v[32:33]
	;; [unrolled: 3-line block ×4, first 2 shown]
	v_fma_f64 v[4:5], v[36:37], v[0:1], v[4:5]
	v_fma_f64 v[6:7], v[36:37], v[2:3], -v[6:7]
	v_fma_f64 v[8:9], v[36:37], v[32:33], v[8:9]
	v_fma_f64 v[10:11], v[36:37], v[34:35], -v[10:11]
	;; [unrolled: 2-line block ×4, first 2 shown]
	ds_load_b128 v[0:3], v132
	ds_load_b128 v[32:35], v132 offset:2816
	ds_load_b128 v[36:39], v132 offset:5632
	;; [unrolled: 1-line block ×3, first 2 shown]
	global_wb scope:SCOPE_SE
	s_wait_dscnt 0x0
	s_barrier_signal -1
	s_barrier_wait -1
	global_inv scope:SCOPE_SE
	v_add_f64_e64 v[133:134], v[0:1], -v[4:5]
	scratch_load_b32 v4, off, off offset:160 th:TH_LOAD_LU ; 4-byte Folded Reload
	v_add_f64_e64 v[135:136], v[2:3], -v[6:7]
	v_add_f64_e64 v[137:138], v[32:33], -v[8:9]
	;; [unrolled: 1-line block ×7, first 2 shown]
	v_fma_f64 v[0:1], v[0:1], 2.0, -v[133:134]
	v_fma_f64 v[2:3], v[2:3], 2.0, -v[135:136]
	;; [unrolled: 1-line block ×8, first 2 shown]
	s_wait_loadcnt 0x0
	ds_store_b128 v4, v[0:3]
	ds_store_b128 v4, v[133:136] offset:64
	scratch_load_b32 v0, off, off offset:156 th:TH_LOAD_LU ; 4-byte Folded Reload
	s_wait_loadcnt 0x0
	ds_store_b128 v0, v[32:35]
	ds_store_b128 v0, v[137:140] offset:64
	scratch_load_b32 v0, off, off offset:152 th:TH_LOAD_LU ; 4-byte Folded Reload
	;; [unrolled: 4-line block ×3, first 2 shown]
	s_wait_loadcnt 0x0
	ds_store_b128 v0, v[128:131]
	ds_store_b128 v0, v[145:148] offset:64
	global_wb scope:SCOPE_SE
	s_wait_dscnt 0x0
	s_barrier_signal -1
	s_barrier_wait -1
	global_inv scope:SCOPE_SE
	ds_load_b128 v[0:3], v132 offset:11264
	ds_load_b128 v[32:35], v132 offset:14080
	ds_load_b128 v[36:39], v132 offset:16896
	ds_load_b128 v[128:131], v132 offset:19712
	s_wait_dscnt 0x3
	v_mul_f64_e32 v[4:5], v[42:43], v[2:3]
	v_mul_f64_e32 v[6:7], v[42:43], v[0:1]
	s_wait_dscnt 0x2
	v_mul_f64_e32 v[8:9], v[42:43], v[34:35]
	v_mul_f64_e32 v[10:11], v[42:43], v[32:33]
	;; [unrolled: 3-line block ×4, first 2 shown]
	v_fma_f64 v[4:5], v[40:41], v[0:1], v[4:5]
	v_fma_f64 v[6:7], v[40:41], v[2:3], -v[6:7]
	v_fma_f64 v[8:9], v[40:41], v[32:33], v[8:9]
	v_fma_f64 v[10:11], v[40:41], v[34:35], -v[10:11]
	;; [unrolled: 2-line block ×4, first 2 shown]
	ds_load_b128 v[0:3], v132
	ds_load_b128 v[32:35], v132 offset:2816
	ds_load_b128 v[36:39], v132 offset:5632
	;; [unrolled: 1-line block ×3, first 2 shown]
	global_wb scope:SCOPE_SE
	s_wait_dscnt 0x0
	s_barrier_signal -1
	s_barrier_wait -1
	global_inv scope:SCOPE_SE
	v_add_f64_e64 v[128:129], v[0:1], -v[4:5]
	scratch_load_b32 v4, off, off offset:176 th:TH_LOAD_LU ; 4-byte Folded Reload
	v_add_f64_e64 v[130:131], v[2:3], -v[6:7]
	v_add_f64_e64 v[133:134], v[32:33], -v[8:9]
	;; [unrolled: 1-line block ×7, first 2 shown]
	v_fma_f64 v[0:1], v[0:1], 2.0, -v[128:129]
	v_fma_f64 v[2:3], v[2:3], 2.0, -v[130:131]
	;; [unrolled: 1-line block ×8, first 2 shown]
	s_wait_loadcnt 0x0
	ds_store_b128 v4, v[0:3]
	ds_store_b128 v4, v[128:131] offset:128
	scratch_load_b32 v0, off, off offset:172 th:TH_LOAD_LU ; 4-byte Folded Reload
	s_wait_loadcnt 0x0
	ds_store_b128 v0, v[32:35]
	ds_store_b128 v0, v[133:136] offset:128
	scratch_load_b32 v0, off, off offset:168 th:TH_LOAD_LU ; 4-byte Folded Reload
	;; [unrolled: 4-line block ×3, first 2 shown]
	s_wait_loadcnt 0x0
	ds_store_b128 v0, v[40:43]
	ds_store_b128 v0, v[141:144] offset:128
	global_wb scope:SCOPE_SE
	s_wait_dscnt 0x0
	s_barrier_signal -1
	s_barrier_wait -1
	global_inv scope:SCOPE_SE
	ds_load_b128 v[0:3], v132 offset:11264
	ds_load_b128 v[32:35], v132 offset:14080
	;; [unrolled: 1-line block ×4, first 2 shown]
	s_wait_dscnt 0x3
	v_mul_f64_e32 v[4:5], v[46:47], v[2:3]
	v_mul_f64_e32 v[6:7], v[46:47], v[0:1]
	s_wait_dscnt 0x2
	v_mul_f64_e32 v[8:9], v[46:47], v[34:35]
	v_mul_f64_e32 v[10:11], v[46:47], v[32:33]
	;; [unrolled: 3-line block ×4, first 2 shown]
	v_fma_f64 v[4:5], v[44:45], v[0:1], v[4:5]
	v_fma_f64 v[6:7], v[44:45], v[2:3], -v[6:7]
	v_fma_f64 v[8:9], v[44:45], v[32:33], v[8:9]
	v_fma_f64 v[10:11], v[44:45], v[34:35], -v[10:11]
	v_fma_f64 v[12:13], v[44:45], v[36:37], v[12:13]
	v_fma_f64 v[14:15], v[44:45], v[38:39], -v[14:15]
	v_fma_f64 v[16:17], v[44:45], v[40:41], v[16:17]
	v_fma_f64 v[18:19], v[44:45], v[42:43], -v[18:19]
	ds_load_b128 v[0:3], v132
	ds_load_b128 v[32:35], v132 offset:2816
	ds_load_b128 v[36:39], v132 offset:5632
	;; [unrolled: 1-line block ×3, first 2 shown]
	global_wb scope:SCOPE_SE
	s_wait_dscnt 0x0
	s_barrier_signal -1
	s_barrier_wait -1
	global_inv scope:SCOPE_SE
	v_add_f64_e64 v[44:45], v[0:1], -v[4:5]
	scratch_load_b32 v4, off, off offset:208 th:TH_LOAD_LU ; 4-byte Folded Reload
	v_add_f64_e64 v[46:47], v[2:3], -v[6:7]
	v_add_f64_e64 v[128:129], v[32:33], -v[8:9]
	;; [unrolled: 1-line block ×7, first 2 shown]
	v_fma_f64 v[0:1], v[0:1], 2.0, -v[44:45]
	v_fma_f64 v[2:3], v[2:3], 2.0, -v[46:47]
	;; [unrolled: 1-line block ×8, first 2 shown]
	s_wait_loadcnt 0x0
	ds_store_b128 v4, v[0:3]
	ds_store_b128 v4, v[44:47] offset:256
	scratch_load_b32 v0, off, off offset:204 th:TH_LOAD_LU ; 4-byte Folded Reload
	s_wait_loadcnt 0x0
	ds_store_b128 v0, v[32:35]
	ds_store_b128 v0, v[128:131] offset:256
	scratch_load_b32 v0, off, off offset:196 th:TH_LOAD_LU ; 4-byte Folded Reload
	;; [unrolled: 4-line block ×3, first 2 shown]
	s_wait_loadcnt 0x0
	ds_store_b128 v0, v[40:43]
	ds_store_b128 v0, v[137:140] offset:256
	global_wb scope:SCOPE_SE
	s_wait_dscnt 0x0
	s_barrier_signal -1
	s_barrier_wait -1
	global_inv scope:SCOPE_SE
	ds_load_b128 v[0:3], v132 offset:11264
	ds_load_b128 v[32:35], v132 offset:14080
	;; [unrolled: 1-line block ×4, first 2 shown]
	s_wait_dscnt 0x3
	v_mul_f64_e32 v[4:5], v[58:59], v[2:3]
	v_mul_f64_e32 v[6:7], v[58:59], v[0:1]
	s_wait_dscnt 0x1
	v_mul_f64_e32 v[12:13], v[58:59], v[38:39]
	v_mul_f64_e32 v[14:15], v[58:59], v[36:37]
	;; [unrolled: 1-line block ×4, first 2 shown]
	s_wait_dscnt 0x0
	v_mul_f64_e32 v[16:17], v[126:127], v[42:43]
	v_mul_f64_e32 v[18:19], v[126:127], v[40:41]
	v_fma_f64 v[4:5], v[56:57], v[0:1], v[4:5]
	v_fma_f64 v[6:7], v[56:57], v[2:3], -v[6:7]
	v_fma_f64 v[12:13], v[56:57], v[36:37], v[12:13]
	v_fma_f64 v[14:15], v[56:57], v[38:39], -v[14:15]
	ds_load_b128 v[0:3], v132
	ds_load_b128 v[44:47], v132 offset:2816
	ds_load_b128 v[56:59], v132 offset:5632
	;; [unrolled: 1-line block ×3, first 2 shown]
	v_fma_f64 v[8:9], v[124:125], v[32:33], v[8:9]
	global_wb scope:SCOPE_SE
	s_wait_dscnt 0x0
	s_barrier_signal -1
	s_barrier_wait -1
	global_inv scope:SCOPE_SE
	v_fma_f64 v[10:11], v[124:125], v[34:35], -v[10:11]
	v_fma_f64 v[16:17], v[52:53], v[40:41], v[16:17]
	v_fma_f64 v[18:19], v[52:53], v[42:43], -v[18:19]
	v_add_f64_e64 v[36:37], v[0:1], -v[4:5]
	v_add_f64_e64 v[38:39], v[2:3], -v[6:7]
	;; [unrolled: 1-line block ×8, first 2 shown]
	v_fma_f64 v[32:33], v[0:1], 2.0, -v[36:37]
	scratch_load_b32 v0, off, off offset:200 th:TH_LOAD_LU ; 4-byte Folded Reload
	v_fma_f64 v[34:35], v[2:3], 2.0, -v[38:39]
	v_fma_f64 v[56:57], v[56:57], 2.0, -v[52:53]
	;; [unrolled: 1-line block ×4, first 2 shown]
	s_wait_loadcnt 0x0
	ds_store_b128 v0, v[32:35]
	ds_store_b128 v0, v[36:39] offset:512
	scratch_load_b32 v0, off, off offset:192 th:TH_LOAD_LU ; 4-byte Folded Reload
	v_fma_f64 v[46:47], v[46:47], 2.0, -v[42:43]
	v_fma_f64 v[128:129], v[128:129], 2.0, -v[124:125]
	;; [unrolled: 1-line block ×3, first 2 shown]
	s_wait_loadcnt 0x0
	ds_store_b128 v0, v[44:47]
	ds_store_b128 v0, v[40:43] offset:512
	scratch_load_b32 v0, off, off offset:184 th:TH_LOAD_LU ; 4-byte Folded Reload
	s_wait_loadcnt 0x0
	ds_store_b128 v0, v[56:59]
	ds_store_b128 v0, v[52:55] offset:512
	scratch_load_b32 v0, off, off offset:180 th:TH_LOAD_LU ; 4-byte Folded Reload
	s_wait_loadcnt 0x0
	ds_store_b128 v0, v[128:131]
	ds_store_b128 v0, v[124:127] offset:512
	global_wb scope:SCOPE_SE
	s_wait_dscnt 0x0
	s_barrier_signal -1
	s_barrier_wait -1
	global_inv scope:SCOPE_SE
	s_and_saveexec_b32 s2, vcc_lo
	s_cbranch_execz .LBB0_7
; %bb.6:
	ds_load_b128 v[32:35], v132
	ds_load_b128 v[36:39], v132 offset:2048
	ds_load_b128 v[44:47], v132 offset:4096
	;; [unrolled: 1-line block ×10, first 2 shown]
.LBB0_7:
	s_wait_alu 0xfffe
	s_or_b32 exec_lo, exec_lo, s2
	global_wb scope:SCOPE_SE
	s_wait_dscnt 0x0
	s_barrier_signal -1
	s_barrier_wait -1
	global_inv scope:SCOPE_SE
	s_and_saveexec_b32 s16, vcc_lo
	s_cbranch_execz .LBB0_9
; %bb.8:
	v_mul_f64_e32 v[0:1], v[50:51], v[36:37]
	v_mul_f64_e32 v[2:3], v[50:51], v[38:39]
	;; [unrolled: 1-line block ×20, first 2 shown]
	s_mov_b32 s22, 0xbb3a28a1
	s_mov_b32 s26, 0xfd768dbf
	;; [unrolled: 1-line block ×11, first 2 shown]
	s_wait_alu 0xfffe
	s_mov_b32 s28, s24
	s_mov_b32 s10, 0x7f775887
	;; [unrolled: 1-line block ×7, first 2 shown]
	v_fma_f64 v[0:1], v[48:49], v[38:39], -v[0:1]
	v_fma_f64 v[2:3], v[48:49], v[36:37], v[2:3]
	v_fma_f64 v[4:5], v[88:89], v[52:53], v[4:5]
	;; [unrolled: 1-line block ×3, first 2 shown]
	v_fma_f64 v[14:15], v[80:81], v[58:59], -v[16:17]
	v_fma_f64 v[52:53], v[84:85], v[126:127], -v[18:19]
	v_fma_f64 v[16:17], v[72:73], v[40:41], v[20:21]
	v_fma_f64 v[48:49], v[76:77], v[120:121], v[22:23]
	;; [unrolled: 1-line block ×4, first 2 shown]
	v_fma_f64 v[22:23], v[60:61], v[46:47], -v[62:63]
	v_fma_f64 v[12:13], v[80:81], v[56:57], v[12:13]
	v_fma_f64 v[36:37], v[64:65], v[112:113], v[82:83]
	v_fma_f64 v[38:39], v[64:65], v[114:115], -v[66:67]
	v_fma_f64 v[6:7], v[92:93], v[128:129], v[6:7]
	v_fma_f64 v[8:9], v[88:89], v[54:55], -v[8:9]
	v_fma_f64 v[10:11], v[92:93], v[130:131], -v[10:11]
	;; [unrolled: 1-line block ×5, first 2 shown]
	s_mov_b32 s30, s18
	s_mov_b32 s34, s26
	;; [unrolled: 1-line block ×6, first 2 shown]
	v_add_f64_e32 v[24:25], v[34:35], v[0:1]
	v_add_f64_e32 v[26:27], v[32:33], v[2:3]
	v_add_f64_e64 v[64:65], v[14:15], -v[52:53]
	v_add_f64_e32 v[74:75], v[14:15], v[52:53]
	v_add_f64_e64 v[56:57], v[16:17], -v[48:49]
	v_add_f64_e32 v[82:83], v[16:17], v[48:49]
	v_add_f64_e64 v[58:59], v[18:19], -v[40:41]
	v_add_f64_e64 v[54:55], v[12:13], -v[50:51]
	v_add_f64_e64 v[60:61], v[2:3], -v[36:37]
	;; [unrolled: 1-line block ×4, first 2 shown]
	v_add_f64_e32 v[0:1], v[0:1], v[38:39]
	v_add_f64_e64 v[62:63], v[8:9], -v[10:11]
	v_add_f64_e32 v[2:3], v[2:3], v[36:37]
	v_add_f64_e64 v[66:67], v[20:21], -v[44:45]
	;; [unrolled: 2-line block ×3, first 2 shown]
	v_add_f64_e32 v[80:81], v[12:13], v[50:51]
	v_add_f64_e32 v[72:73], v[8:9], v[10:11]
	;; [unrolled: 1-line block ×7, first 2 shown]
	v_mul_f64_e32 v[112:113], s[20:21], v[64:65]
	v_mul_f64_e32 v[128:129], s[26:27], v[64:65]
	;; [unrolled: 1-line block ×5, first 2 shown]
	s_wait_alu 0xfffe
	v_mul_f64_e32 v[143:144], s[34:35], v[58:59]
	v_mul_f64_e32 v[86:87], s[20:21], v[54:55]
	;; [unrolled: 1-line block ×9, first 2 shown]
	s_mov_b32 s21, 0xbfed1bb4
	v_mul_f64_e32 v[155:156], s[18:19], v[70:71]
	v_mul_f64_e32 v[173:174], s[28:29], v[60:61]
	s_wait_alu 0xfffe
	v_mul_f64_e32 v[175:176], s[20:21], v[70:71]
	v_mul_f64_e32 v[70:71], s[28:29], v[70:71]
	;; [unrolled: 1-line block ×16, first 2 shown]
	v_add_f64_e32 v[20:21], v[24:25], v[20:21]
	v_add_f64_e32 v[16:17], v[26:27], v[16:17]
	v_mul_f64_e32 v[26:27], s[22:23], v[60:61]
	v_mul_f64_e32 v[60:61], s[20:21], v[60:61]
	;; [unrolled: 1-line block ×6, first 2 shown]
	v_fma_f64 v[177:178], v[76:77], s[10:11], v[88:89]
	v_fma_f64 v[179:180], v[22:23], s[12:13], v[90:91]
	v_fma_f64 v[90:91], v[22:23], s[12:13], -v[90:91]
	v_fma_f64 v[88:89], v[76:77], s[10:11], -v[88:89]
	v_fma_f64 v[181:182], v[0:1], s[8:9], v[92:93]
	v_fma_f64 v[92:93], v[0:1], s[8:9], -v[92:93]
	v_fma_f64 v[195:196], v[2:3], s[10:11], -v[135:136]
	v_fma_f64 v[135:136], v[2:3], s[10:11], v[135:136]
	v_fma_f64 v[191:192], v[2:3], s[8:9], -v[118:119]
	v_fma_f64 v[118:119], v[2:3], s[8:9], v[118:119]
	v_fma_f64 v[197:198], v[0:1], s[14:15], v[145:146]
	v_fma_f64 v[145:146], v[0:1], s[14:15], -v[145:146]
	v_fma_f64 v[199:200], v[2:3], s[14:15], -v[155:156]
	v_fma_f64 v[155:156], v[2:3], s[14:15], v[155:156]
	v_fma_f64 v[201:202], v[0:1], s[12:13], v[173:174]
	v_fma_f64 v[173:174], v[0:1], s[12:13], -v[173:174]
	v_fma_f64 v[205:206], v[2:3], s[2:3], v[175:176]
	v_fma_f64 v[189:190], v[18:19], s[12:13], -v[116:117]
	;; [unrolled: 2-line block ×4, first 2 shown]
	v_fma_f64 v[171:172], v[18:19], s[10:11], v[171:172]
	v_fma_f64 v[209:210], v[22:23], s[10:11], v[163:164]
	v_fma_f64 v[163:164], v[22:23], s[10:11], -v[163:164]
	v_fma_f64 v[217:218], v[76:77], s[14:15], v[56:57]
	v_fma_f64 v[56:57], v[76:77], s[14:15], -v[56:57]
	v_fma_f64 v[187:188], v[82:83], s[10:11], -v[114:115]
	v_fma_f64 v[114:115], v[82:83], s[10:11], v[114:115]
	v_fma_f64 v[219:220], v[82:83], s[14:15], -v[66:67]
	v_add_f64_e32 v[14:15], v[20:21], v[14:15]
	v_add_f64_e32 v[12:13], v[16:17], v[12:13]
	v_mul_f64_e32 v[20:21], s[20:21], v[68:69]
	v_fma_f64 v[193:194], v[0:1], s[10:11], v[26:27]
	v_fma_f64 v[26:27], v[0:1], s[10:11], -v[26:27]
	v_mul_f64_e32 v[16:17], s[20:21], v[58:59]
	v_fma_f64 v[203:204], v[0:1], s[2:3], -v[60:61]
	v_fma_f64 v[0:1], v[0:1], s[2:3], v[60:61]
	v_fma_f64 v[60:61], v[2:3], s[2:3], -v[175:176]
	v_fma_f64 v[175:176], v[22:23], s[8:9], v[143:144]
	v_fma_f64 v[143:144], v[22:23], s[8:9], -v[143:144]
	v_fma_f64 v[66:67], v[82:83], s[14:15], v[66:67]
	v_mul_f64_e32 v[149:150], s[28:29], v[64:65]
	v_add_f64_e32 v[92:93], v[34:35], v[92:93]
	v_mul_f64_e32 v[64:65], s[22:23], v[64:65]
	v_add_f64_e32 v[135:136], v[32:33], v[135:136]
	;; [unrolled: 2-line block ×6, first 2 shown]
	v_fma_f64 v[68:69], v[74:75], s[2:3], v[86:87]
	v_fma_f64 v[86:87], v[74:75], s[2:3], -v[86:87]
	v_mul_f64_e32 v[94:95], s[18:19], v[62:63]
	v_mul_f64_e32 v[147:148], s[22:23], v[62:63]
	v_mul_f64_e32 v[165:166], s[24:25], v[62:63]
	v_mul_f64_e32 v[62:63], s[26:27], v[62:63]
	v_fma_f64 v[185:186], v[80:81], s[2:3], -v[112:113]
	v_fma_f64 v[112:113], v[80:81], s[2:3], v[112:113]
	v_add_f64_e32 v[8:9], v[14:15], v[8:9]
	v_add_f64_e32 v[4:5], v[12:13], v[4:5]
	v_fma_f64 v[12:13], v[2:3], s[12:13], v[70:71]
	v_fma_f64 v[2:3], v[2:3], s[12:13], -v[70:71]
	v_fma_f64 v[14:15], v[22:23], s[14:15], v[24:25]
	v_fma_f64 v[70:71], v[18:19], s[14:15], -v[133:134]
	v_fma_f64 v[24:25], v[22:23], s[14:15], -v[24:25]
	v_fma_f64 v[133:134], v[18:19], s[14:15], v[133:134]
	v_fma_f64 v[215:216], v[18:19], s[2:3], -v[20:21]
	v_fma_f64 v[18:19], v[18:19], s[2:3], v[20:21]
	v_add_f64_e32 v[20:21], v[34:35], v[181:182]
	v_add_f64_e32 v[181:182], v[34:35], v[193:194]
	;; [unrolled: 1-line block ×3, first 2 shown]
	v_fma_f64 v[213:214], v[22:23], s[2:3], v[16:17]
	v_fma_f64 v[16:17], v[22:23], s[2:3], -v[16:17]
	v_add_f64_e32 v[22:23], v[32:33], v[191:192]
	v_add_f64_e32 v[191:192], v[32:33], v[195:196]
	;; [unrolled: 1-line block ×9, first 2 shown]
	v_fma_f64 v[60:61], v[82:83], s[12:13], v[130:131]
	v_fma_f64 v[203:204], v[76:77], s[8:9], v[161:162]
	v_fma_f64 v[161:162], v[76:77], s[8:9], -v[161:162]
	v_fma_f64 v[205:206], v[82:83], s[8:9], -v[169:170]
	v_fma_f64 v[169:170], v[82:83], s[8:9], v[169:170]
	v_fma_f64 v[58:59], v[72:73], s[14:15], v[84:85]
	v_fma_f64 v[84:85], v[72:73], s[14:15], -v[84:85]
	v_fma_f64 v[183:184], v[78:79], s[14:15], -v[94:95]
	v_fma_f64 v[94:95], v[78:79], s[14:15], v[94:95]
	v_add_f64_e32 v[8:9], v[8:9], v[10:11]
	v_add_f64_e32 v[4:5], v[4:5], v[6:7]
	;; [unrolled: 1-line block ×4, first 2 shown]
	v_fma_f64 v[10:11], v[76:77], s[12:13], v[124:125]
	v_fma_f64 v[32:33], v[76:77], s[12:13], -v[124:125]
	v_fma_f64 v[124:125], v[76:77], s[2:3], v[141:142]
	v_fma_f64 v[141:142], v[76:77], s[2:3], -v[141:142]
	v_add_f64_e32 v[76:77], v[90:91], v[92:93]
	v_fma_f64 v[12:13], v[82:83], s[12:13], -v[130:131]
	v_fma_f64 v[130:131], v[82:83], s[2:3], -v[151:152]
	v_add_f64_e32 v[14:15], v[14:15], v[181:182]
	v_add_f64_e32 v[24:25], v[24:25], v[26:27]
	;; [unrolled: 1-line block ×3, first 2 shown]
	v_fma_f64 v[151:152], v[82:83], s[2:3], v[151:152]
	v_add_f64_e32 v[82:83], v[116:117], v[118:119]
	v_add_f64_e32 v[20:21], v[179:180], v[20:21]
	;; [unrolled: 1-line block ×14, first 2 shown]
	v_fma_f64 v[153:154], v[74:75], s[14:15], v[159:160]
	v_fma_f64 v[155:156], v[80:81], s[14:15], -v[167:168]
	v_fma_f64 v[159:160], v[74:75], s[14:15], -v[159:160]
	v_fma_f64 v[163:164], v[80:81], s[14:15], v[167:168]
	v_fma_f64 v[167:168], v[74:75], s[10:11], v[54:55]
	v_fma_f64 v[54:55], v[74:75], s[10:11], -v[54:55]
	v_fma_f64 v[145:146], v[80:81], s[12:13], -v[149:150]
	v_fma_f64 v[149:150], v[80:81], s[12:13], v[149:150]
	v_fma_f64 v[171:172], v[80:81], s[10:11], -v[64:65]
	v_add_f64_e32 v[8:9], v[8:9], v[52:53]
	v_add_f64_e32 v[4:5], v[4:5], v[50:51]
	;; [unrolled: 1-line block ×4, first 2 shown]
	v_fma_f64 v[18:19], v[74:75], s[8:9], v[122:123]
	v_fma_f64 v[50:51], v[80:81], s[8:9], -v[128:129]
	v_fma_f64 v[52:53], v[74:75], s[8:9], -v[122:123]
	v_fma_f64 v[122:123], v[80:81], s[8:9], v[128:129]
	v_fma_f64 v[128:129], v[74:75], s[12:13], v[139:140]
	v_fma_f64 v[139:140], v[74:75], s[12:13], -v[139:140]
	v_add_f64_e32 v[74:75], v[88:89], v[76:77]
	v_add_f64_e32 v[10:11], v[10:11], v[14:15]
	;; [unrolled: 1-line block ×4, first 2 shown]
	v_fma_f64 v[64:65], v[80:81], s[10:11], v[64:65]
	v_add_f64_e32 v[76:77], v[114:115], v[82:83]
	v_add_f64_e32 v[20:21], v[177:178], v[20:21]
	;; [unrolled: 1-line block ×14, first 2 shown]
	v_fma_f64 v[88:89], v[78:79], s[2:3], v[126:127]
	v_fma_f64 v[90:91], v[72:73], s[10:11], v[137:138]
	v_fma_f64 v[114:115], v[72:73], s[10:11], -v[137:138]
	v_fma_f64 v[118:119], v[72:73], s[12:13], v[157:158]
	v_fma_f64 v[124:125], v[72:73], s[12:13], -v[157:158]
	;; [unrolled: 2-line block ×4, first 2 shown]
	v_add_f64_e32 v[8:9], v[8:9], v[44:45]
	v_add_f64_e32 v[4:5], v[4:5], v[48:49]
	;; [unrolled: 1-line block ×4, first 2 shown]
	v_fma_f64 v[44:45], v[72:73], s[2:3], v[120:121]
	v_fma_f64 v[66:67], v[72:73], s[2:3], -v[120:121]
	v_fma_f64 v[72:73], v[72:73], s[8:9], -v[46:47]
	;; [unrolled: 1-line block ×4, first 2 shown]
	v_fma_f64 v[126:127], v[78:79], s[12:13], v[165:166]
	v_add_f64_e32 v[46:47], v[86:87], v[74:75]
	v_add_f64_e32 v[10:11], v[18:19], v[10:11]
	;; [unrolled: 1-line block ×4, first 2 shown]
	v_fma_f64 v[78:79], v[78:79], s[8:9], v[62:63]
	v_add_f64_e32 v[62:63], v[112:113], v[76:77]
	v_add_f64_e32 v[20:21], v[68:69], v[20:21]
	;; [unrolled: 1-line block ×40, first 2 shown]
	v_lshrrev_b32_e32 v4, 6, v255
	v_and_b32_e32 v5, 63, v255
	s_delay_alu instid0(VALU_DEP_2) | instskip(NEXT) | instid1(VALU_DEP_1)
	v_mul_u32_u24_e32 v4, 0x2c0, v4
	v_or_b32_e32 v4, v4, v5
	s_delay_alu instid0(VALU_DEP_1)
	v_lshlrev_b32_e32 v4, 4, v4
	ds_store_b128 v4, v[44:47] offset:4096
	ds_store_b128 v4, v[32:35] offset:5120
	;; [unrolled: 1-line block ×8, first 2 shown]
	ds_store_b128 v4, v[36:39]
	ds_store_b128 v4, v[60:63] offset:1024
	ds_store_b128 v4, v[56:59] offset:10240
.LBB0_9:
	s_wait_alu 0xfffe
	s_or_b32 exec_lo, exec_lo, s16
	global_wb scope:SCOPE_SE
	s_wait_dscnt 0x0
	s_barrier_signal -1
	s_barrier_wait -1
	global_inv scope:SCOPE_SE
	ds_load_b128 v[0:3], v132 offset:11264
	ds_load_b128 v[32:35], v132 offset:14080
	;; [unrolled: 1-line block ×4, first 2 shown]
	v_mad_co_u64_u32 v[68:69], null, s4, v255, 0
	s_mov_b32 s2, 0x745d1746
	s_mov_b32 s3, 0x3f4745d1
	s_wait_dscnt 0x3
	v_mul_f64_e32 v[4:5], v[98:99], v[2:3]
	v_mul_f64_e32 v[6:7], v[98:99], v[0:1]
	s_wait_dscnt 0x2
	v_mul_f64_e32 v[8:9], v[102:103], v[34:35]
	v_mul_f64_e32 v[10:11], v[102:103], v[32:33]
	;; [unrolled: 3-line block ×4, first 2 shown]
	v_fma_f64 v[4:5], v[96:97], v[0:1], v[4:5]
	v_fma_f64 v[6:7], v[96:97], v[2:3], -v[6:7]
	v_fma_f64 v[8:9], v[100:101], v[32:33], v[8:9]
	v_fma_f64 v[10:11], v[100:101], v[34:35], -v[10:11]
	;; [unrolled: 2-line block ×4, first 2 shown]
	ds_load_b128 v[0:3], v132
	ds_load_b128 v[32:35], v132 offset:2816
	ds_load_b128 v[36:39], v132 offset:5632
	;; [unrolled: 1-line block ×3, first 2 shown]
	s_wait_dscnt 0x3
	v_add_f64_e64 v[44:45], v[0:1], -v[4:5]
	v_add_f64_e64 v[46:47], v[2:3], -v[6:7]
	s_wait_dscnt 0x2
	v_add_f64_e64 v[48:49], v[32:33], -v[8:9]
	v_add_f64_e64 v[50:51], v[34:35], -v[10:11]
	s_wait_dscnt 0x1
	v_add_f64_e64 v[52:53], v[36:37], -v[12:13]
	v_add_f64_e64 v[54:55], v[38:39], -v[14:15]
	s_wait_dscnt 0x0
	v_add_f64_e64 v[56:57], v[40:41], -v[16:17]
	v_add_f64_e64 v[58:59], v[42:43], -v[18:19]
	v_fma_f64 v[0:1], v[0:1], 2.0, -v[44:45]
	v_fma_f64 v[2:3], v[2:3], 2.0, -v[46:47]
	;; [unrolled: 1-line block ×8, first 2 shown]
	ds_store_b128 v132, v[44:47] offset:11264
	ds_store_b128 v132, v[48:51] offset:14080
	;; [unrolled: 1-line block ×4, first 2 shown]
	ds_store_b128 v132, v[0:3]
	ds_store_b128 v132, v[32:35] offset:2816
	ds_store_b128 v132, v[36:39] offset:5632
	ds_store_b128 v132, v[40:43] offset:8448
	global_wb scope:SCOPE_SE
	s_wait_dscnt 0x0
	s_barrier_signal -1
	s_barrier_wait -1
	global_inv scope:SCOPE_SE
	ds_load_b128 v[0:3], v132
	ds_load_b128 v[32:35], v132 offset:11264
	ds_load_b128 v[36:39], v132 offset:2816
	ds_load_b128 v[40:43], v132 offset:14080
	ds_load_b128 v[44:47], v132 offset:5632
	ds_load_b128 v[48:51], v132 offset:16896
	ds_load_b128 v[52:55], v132 offset:8448
	ds_load_b128 v[56:59], v132 offset:19712
	s_clause 0x2
	scratch_load_b128 v[73:76], off, off offset:8 th:TH_LOAD_LU
	scratch_load_b64 v[66:67], off, off th:TH_LOAD_LU
	scratch_load_b128 v[79:82], off, off offset:40 th:TH_LOAD_LU
	s_wait_dscnt 0x0
	v_mul_f64_e32 v[64:65], v[30:31], v[58:59]
	v_mul_f64_e32 v[30:31], v[30:31], v[56:57]
	s_delay_alu instid0(VALU_DEP_1) | instskip(SKIP_1) | instid1(VALU_DEP_1)
	v_fma_f64 v[30:31], v[28:29], v[58:59], -v[30:31]
	s_wait_alu 0xfffe
	v_mul_f64_e32 v[30:31], s[2:3], v[30:31]
	s_wait_loadcnt 0x2
	v_mul_f64_e32 v[4:5], v[75:76], v[2:3]
	v_mul_f64_e32 v[6:7], v[75:76], v[0:1]
	scratch_load_b128 v[75:78], off, off offset:24 th:TH_LOAD_LU ; 16-byte Folded Reload
	s_wait_loadcnt 0x1
	v_mul_f64_e32 v[8:9], v[81:82], v[34:35]
	v_mul_f64_e32 v[10:11], v[81:82], v[32:33]
	scratch_load_b128 v[81:84], off, off offset:56 th:TH_LOAD_LU ; 16-byte Folded Reload
	v_mov_b32_e32 v70, v66
	s_delay_alu instid0(VALU_DEP_1) | instskip(NEXT) | instid1(VALU_DEP_1)
	v_mad_co_u64_u32 v[66:67], null, s6, v70, 0
	v_mad_co_u64_u32 v[70:71], null, s7, v70, v[67:68]
	v_mov_b32_e32 v67, v69
	s_movk_i32 s6, 0xdf00
	s_mov_b32 s7, -1
	s_delay_alu instid0(VALU_DEP_1) | instskip(NEXT) | instid1(VALU_DEP_3)
	v_mad_co_u64_u32 v[71:72], null, s5, v255, v[67:68]
	v_mov_b32_e32 v67, v70
	s_delay_alu instid0(VALU_DEP_2)
	v_mov_b32_e32 v69, v71
	v_fma_f64 v[0:1], v[73:74], v[0:1], v[4:5]
	v_fma_f64 v[2:3], v[73:74], v[2:3], -v[6:7]
	v_fma_f64 v[4:5], v[79:80], v[32:33], v[8:9]
	v_fma_f64 v[6:7], v[79:80], v[34:35], -v[10:11]
	v_fma_f64 v[32:33], v[28:29], v[56:57], v[64:65]
	v_lshlrev_b64_e32 v[28:29], 4, v[66:67]
	v_lshlrev_b64_e32 v[34:35], 4, v[68:69]
	s_delay_alu instid0(VALU_DEP_2) | instskip(SKIP_1) | instid1(VALU_DEP_3)
	v_add_co_u32 v28, vcc_lo, s0, v28
	s_wait_alu 0xfffd
	v_add_co_ci_u32_e32 v29, vcc_lo, s1, v29, vcc_lo
	s_mul_u64 s[0:1], s[4:5], 0x2c00
	s_delay_alu instid0(VALU_DEP_2) | instskip(SKIP_1) | instid1(VALU_DEP_2)
	v_add_co_u32 v34, vcc_lo, v28, v34
	s_wait_alu 0xfffd
	v_add_co_ci_u32_e32 v35, vcc_lo, v29, v35, vcc_lo
	v_mul_f64_e32 v[0:1], s[2:3], v[0:1]
	v_mul_f64_e32 v[2:3], s[2:3], v[2:3]
	;; [unrolled: 1-line block ×5, first 2 shown]
	s_wait_loadcnt 0x1
	v_mul_f64_e32 v[12:13], v[77:78], v[38:39]
	v_mul_f64_e32 v[14:15], v[77:78], v[36:37]
	s_wait_loadcnt 0x0
	v_mul_f64_e32 v[16:17], v[83:84], v[42:43]
	v_mul_f64_e32 v[18:19], v[83:84], v[40:41]
	scratch_load_b128 v[83:86], off, off offset:72 th:TH_LOAD_LU ; 16-byte Folded Reload
	v_fma_f64 v[8:9], v[75:76], v[36:37], v[12:13]
	v_fma_f64 v[10:11], v[75:76], v[38:39], -v[14:15]
	s_wait_alu 0xfffe
	v_add_co_u32 v36, vcc_lo, v34, s0
	v_fma_f64 v[12:13], v[81:82], v[40:41], v[16:17]
	v_fma_f64 v[14:15], v[81:82], v[42:43], -v[18:19]
	s_wait_alu 0xfffd
	v_add_co_ci_u32_e32 v37, vcc_lo, s1, v35, vcc_lo
	v_mul_f64_e32 v[8:9], s[2:3], v[8:9]
	v_mul_f64_e32 v[10:11], s[2:3], v[10:11]
	;; [unrolled: 1-line block ×4, first 2 shown]
	s_wait_loadcnt 0x0
	v_mul_f64_e32 v[20:21], v[85:86], v[46:47]
	v_mul_f64_e32 v[22:23], v[85:86], v[44:45]
	scratch_load_b128 v[85:88], off, off offset:88 th:TH_LOAD_LU ; 16-byte Folded Reload
	v_fma_f64 v[16:17], v[83:84], v[44:45], v[20:21]
	v_fma_f64 v[18:19], v[83:84], v[46:47], -v[22:23]
	s_delay_alu instid0(VALU_DEP_2) | instskip(NEXT) | instid1(VALU_DEP_2)
	v_mul_f64_e32 v[16:17], s[2:3], v[16:17]
	v_mul_f64_e32 v[18:19], s[2:3], v[18:19]
	s_wait_loadcnt 0x0
	v_mul_f64_e32 v[24:25], v[87:88], v[50:51]
	v_mul_f64_e32 v[26:27], v[87:88], v[48:49]
	scratch_load_b128 v[87:90], off, off offset:104 th:TH_LOAD_LU ; 16-byte Folded Reload
	v_fma_f64 v[20:21], v[85:86], v[48:49], v[24:25]
	v_fma_f64 v[22:23], v[85:86], v[50:51], -v[26:27]
	s_delay_alu instid0(VALU_DEP_2) | instskip(NEXT) | instid1(VALU_DEP_2)
	v_mul_f64_e32 v[20:21], s[2:3], v[20:21]
	v_mul_f64_e32 v[22:23], s[2:3], v[22:23]
	s_wait_loadcnt 0x0
	v_mul_f64_e32 v[60:61], v[89:90], v[54:55]
	v_mul_f64_e32 v[62:63], v[89:90], v[52:53]
	s_delay_alu instid0(VALU_DEP_2) | instskip(NEXT) | instid1(VALU_DEP_2)
	v_fma_f64 v[24:25], v[87:88], v[52:53], v[60:61]
	v_fma_f64 v[26:27], v[87:88], v[54:55], -v[62:63]
	s_delay_alu instid0(VALU_DEP_2) | instskip(NEXT) | instid1(VALU_DEP_2)
	v_mul_f64_e32 v[24:25], s[2:3], v[24:25]
	v_mul_f64_e32 v[26:27], s[2:3], v[26:27]
	s_mul_u64 s[2:3], s[4:5], s[6:7]
	s_wait_alu 0xfffe
	v_add_co_u32 v32, vcc_lo, v36, s2
	s_wait_alu 0xfffd
	v_add_co_ci_u32_e32 v33, vcc_lo, s3, v37, vcc_lo
	s_delay_alu instid0(VALU_DEP_2) | instskip(SKIP_1) | instid1(VALU_DEP_2)
	v_add_co_u32 v38, vcc_lo, v32, s0
	s_wait_alu 0xfffd
	v_add_co_ci_u32_e32 v39, vcc_lo, s1, v33, vcc_lo
	s_delay_alu instid0(VALU_DEP_2) | instskip(SKIP_1) | instid1(VALU_DEP_2)
	;; [unrolled: 4-line block ×5, first 2 shown]
	v_add_co_u32 v46, vcc_lo, v44, s0
	s_wait_alu 0xfffd
	v_add_co_ci_u32_e32 v47, vcc_lo, s1, v45, vcc_lo
	s_clause 0x4
	global_store_b128 v[34:35], v[0:3], off
	global_store_b128 v[36:37], v[4:7], off
	;; [unrolled: 1-line block ×8, first 2 shown]
.LBB0_10:
	s_nop 0
	s_sendmsg sendmsg(MSG_DEALLOC_VGPRS)
	s_endpgm
	.section	.rodata,"a",@progbits
	.p2align	6, 0x0
	.amdhsa_kernel bluestein_single_back_len1408_dim1_dp_op_CI_CI
		.amdhsa_group_segment_fixed_size 22528
		.amdhsa_private_segment_fixed_size 216
		.amdhsa_kernarg_size 104
		.amdhsa_user_sgpr_count 2
		.amdhsa_user_sgpr_dispatch_ptr 0
		.amdhsa_user_sgpr_queue_ptr 0
		.amdhsa_user_sgpr_kernarg_segment_ptr 1
		.amdhsa_user_sgpr_dispatch_id 0
		.amdhsa_user_sgpr_private_segment_size 0
		.amdhsa_wavefront_size32 1
		.amdhsa_uses_dynamic_stack 0
		.amdhsa_enable_private_segment 1
		.amdhsa_system_sgpr_workgroup_id_x 1
		.amdhsa_system_sgpr_workgroup_id_y 0
		.amdhsa_system_sgpr_workgroup_id_z 0
		.amdhsa_system_sgpr_workgroup_info 0
		.amdhsa_system_vgpr_workitem_id 0
		.amdhsa_next_free_vgpr 256
		.amdhsa_next_free_sgpr 42
		.amdhsa_reserve_vcc 1
		.amdhsa_float_round_mode_32 0
		.amdhsa_float_round_mode_16_64 0
		.amdhsa_float_denorm_mode_32 3
		.amdhsa_float_denorm_mode_16_64 3
		.amdhsa_fp16_overflow 0
		.amdhsa_workgroup_processor_mode 1
		.amdhsa_memory_ordered 1
		.amdhsa_forward_progress 0
		.amdhsa_round_robin_scheduling 0
		.amdhsa_exception_fp_ieee_invalid_op 0
		.amdhsa_exception_fp_denorm_src 0
		.amdhsa_exception_fp_ieee_div_zero 0
		.amdhsa_exception_fp_ieee_overflow 0
		.amdhsa_exception_fp_ieee_underflow 0
		.amdhsa_exception_fp_ieee_inexact 0
		.amdhsa_exception_int_div_zero 0
	.end_amdhsa_kernel
	.text
.Lfunc_end0:
	.size	bluestein_single_back_len1408_dim1_dp_op_CI_CI, .Lfunc_end0-bluestein_single_back_len1408_dim1_dp_op_CI_CI
                                        ; -- End function
	.section	.AMDGPU.csdata,"",@progbits
; Kernel info:
; codeLenInByte = 14892
; NumSgprs: 44
; NumVgprs: 256
; ScratchSize: 216
; MemoryBound: 0
; FloatMode: 240
; IeeeMode: 1
; LDSByteSize: 22528 bytes/workgroup (compile time only)
; SGPRBlocks: 5
; VGPRBlocks: 31
; NumSGPRsForWavesPerEU: 44
; NumVGPRsForWavesPerEU: 256
; Occupancy: 5
; WaveLimiterHint : 1
; COMPUTE_PGM_RSRC2:SCRATCH_EN: 1
; COMPUTE_PGM_RSRC2:USER_SGPR: 2
; COMPUTE_PGM_RSRC2:TRAP_HANDLER: 0
; COMPUTE_PGM_RSRC2:TGID_X_EN: 1
; COMPUTE_PGM_RSRC2:TGID_Y_EN: 0
; COMPUTE_PGM_RSRC2:TGID_Z_EN: 0
; COMPUTE_PGM_RSRC2:TIDIG_COMP_CNT: 0
	.text
	.p2alignl 7, 3214868480
	.fill 96, 4, 3214868480
	.type	__hip_cuid_d4ac55a7801d574c,@object ; @__hip_cuid_d4ac55a7801d574c
	.section	.bss,"aw",@nobits
	.globl	__hip_cuid_d4ac55a7801d574c
__hip_cuid_d4ac55a7801d574c:
	.byte	0                               ; 0x0
	.size	__hip_cuid_d4ac55a7801d574c, 1

	.ident	"AMD clang version 19.0.0git (https://github.com/RadeonOpenCompute/llvm-project roc-6.4.0 25133 c7fe45cf4b819c5991fe208aaa96edf142730f1d)"
	.section	".note.GNU-stack","",@progbits
	.addrsig
	.addrsig_sym __hip_cuid_d4ac55a7801d574c
	.amdgpu_metadata
---
amdhsa.kernels:
  - .args:
      - .actual_access:  read_only
        .address_space:  global
        .offset:         0
        .size:           8
        .value_kind:     global_buffer
      - .actual_access:  read_only
        .address_space:  global
        .offset:         8
        .size:           8
        .value_kind:     global_buffer
      - .actual_access:  read_only
        .address_space:  global
        .offset:         16
        .size:           8
        .value_kind:     global_buffer
      - .actual_access:  read_only
        .address_space:  global
        .offset:         24
        .size:           8
        .value_kind:     global_buffer
      - .actual_access:  read_only
        .address_space:  global
        .offset:         32
        .size:           8
        .value_kind:     global_buffer
      - .offset:         40
        .size:           8
        .value_kind:     by_value
      - .address_space:  global
        .offset:         48
        .size:           8
        .value_kind:     global_buffer
      - .address_space:  global
        .offset:         56
        .size:           8
        .value_kind:     global_buffer
      - .address_space:  global
        .offset:         64
        .size:           8
        .value_kind:     global_buffer
      - .address_space:  global
        .offset:         72
        .size:           8
        .value_kind:     global_buffer
      - .offset:         80
        .size:           4
        .value_kind:     by_value
      - .address_space:  global
        .offset:         88
        .size:           8
        .value_kind:     global_buffer
      - .address_space:  global
        .offset:         96
        .size:           8
        .value_kind:     global_buffer
    .group_segment_fixed_size: 22528
    .kernarg_segment_align: 8
    .kernarg_segment_size: 104
    .language:       OpenCL C
    .language_version:
      - 2
      - 0
    .max_flat_workgroup_size: 176
    .name:           bluestein_single_back_len1408_dim1_dp_op_CI_CI
    .private_segment_fixed_size: 216
    .sgpr_count:     44
    .sgpr_spill_count: 0
    .symbol:         bluestein_single_back_len1408_dim1_dp_op_CI_CI.kd
    .uniform_work_group_size: 1
    .uses_dynamic_stack: false
    .vgpr_count:     256
    .vgpr_spill_count: 53
    .wavefront_size: 32
    .workgroup_processor_mode: 1
amdhsa.target:   amdgcn-amd-amdhsa--gfx1201
amdhsa.version:
  - 1
  - 2
...

	.end_amdgpu_metadata
